;; amdgpu-corpus repo=ROCm/rocFFT kind=compiled arch=gfx1030 opt=O3
	.text
	.amdgcn_target "amdgcn-amd-amdhsa--gfx1030"
	.amdhsa_code_object_version 6
	.protected	bluestein_single_fwd_len312_dim1_sp_op_CI_CI ; -- Begin function bluestein_single_fwd_len312_dim1_sp_op_CI_CI
	.globl	bluestein_single_fwd_len312_dim1_sp_op_CI_CI
	.p2align	8
	.type	bluestein_single_fwd_len312_dim1_sp_op_CI_CI,@function
bluestein_single_fwd_len312_dim1_sp_op_CI_CI: ; @bluestein_single_fwd_len312_dim1_sp_op_CI_CI
; %bb.0:
	s_load_dwordx4 s[0:3], s[4:5], 0x28
	v_mul_u32_u24_e32 v1, 0x9d9, v0
	v_mov_b32_e32 v45, 0
	v_lshrrev_b32_e32 v1, 16, v1
	v_lshl_add_u32 v44, s6, 1, v1
	s_waitcnt lgkmcnt(0)
	v_cmp_gt_u64_e32 vcc_lo, s[0:1], v[44:45]
	s_and_saveexec_b32 s0, vcc_lo
	s_cbranch_execz .LBB0_15
; %bb.1:
	v_mul_lo_u16 v2, v1, 26
	s_clause 0x1
	s_load_dwordx2 s[14:15], s[4:5], 0x0
	s_load_dwordx2 s[12:13], s[4:5], 0x38
	v_and_b32_e32 v1, 1, v1
	v_sub_nc_u16 v0, v0, v2
	v_cmp_eq_u32_e32 vcc_lo, 1, v1
	v_and_b32_e32 v74, 0xffff, v0
	v_cndmask_b32_e64 v75, 0, 0x138, vcc_lo
	v_cmp_gt_u16_e32 vcc_lo, 24, v0
	v_lshlrev_b32_e32 v76, 3, v74
	v_or_b32_e32 v73, 0x60, v74
	v_lshlrev_b32_e32 v77, 3, v75
	v_or_b32_e32 v72, 0xc0, v74
	v_or_b32_e32 v71, 0x120, v74
	s_and_saveexec_b32 s1, vcc_lo
	s_cbranch_execz .LBB0_3
; %bb.2:
	s_load_dwordx2 s[6:7], s[4:5], 0x18
	v_lshlrev_b32_e32 v14, 3, v71
	s_waitcnt lgkmcnt(0)
	v_add_co_u32 v45, s0, s14, v76
	v_add_co_ci_u32_e64 v46, null, s15, 0, s0
	v_lshl_add_u32 v57, v74, 3, v77
	v_add_nc_u32_e32 v58, v77, v76
	s_load_dwordx4 s[8:11], s[6:7], 0x0
	s_clause 0x2
	global_load_dwordx2 v[0:1], v76, s[14:15] offset:768
	global_load_dwordx2 v[2:3], v76, s[14:15] offset:1536
	global_load_dwordx2 v[14:15], v14, s[14:15]
	s_waitcnt lgkmcnt(0)
	v_mad_u64_u32 v[4:5], null, s10, v44, 0
	v_mad_u64_u32 v[6:7], null, s8, v74, 0
	;; [unrolled: 1-line block ×9, first 2 shown]
	v_mov_b32_e32 v5, v16
	s_mul_i32 s0, s9, 0xc0
	v_mov_b32_e32 v7, v17
	s_mul_hi_u32 s6, s8, 0xc0
	v_mov_b32_e32 v9, v18
	v_lshlrev_b64 v[4:5], 3, v[4:5]
	s_add_i32 s6, s6, s0
	v_lshlrev_b64 v[6:7], 3, v[6:7]
	v_mov_b32_e32 v11, v19
	v_lshlrev_b64 v[8:9], 3, v[8:9]
	s_mul_i32 s7, s8, 0xc0
	s_waitcnt vmcnt(0)
	v_mad_u64_u32 v[20:21], null, s9, v71, v[13:14]
	v_mov_b32_e32 v13, v20
	v_add_co_u32 v20, s0, s2, v4
	v_add_co_ci_u32_e64 v21, s0, s3, v5, s0
	v_lshlrev_b64 v[4:5], 3, v[10:11]
	v_add_co_u32 v6, s0, v20, v6
	v_add_co_ci_u32_e64 v7, s0, v21, v7, s0
	v_lshlrev_b64 v[10:11], 3, v[12:13]
	v_add_co_u32 v12, s0, v6, s7
	v_add_co_ci_u32_e64 v13, s0, s6, v7, s0
	v_add_co_u32 v8, s0, v20, v8
	v_add_co_ci_u32_e64 v9, s0, v21, v9, s0
	v_add_co_u32 v16, s0, v12, s7
	v_add_co_ci_u32_e64 v17, s0, s6, v13, s0
	v_add_co_u32 v4, s0, v20, v4
	v_add_co_ci_u32_e64 v5, s0, v21, v5, s0
	v_add_co_u32 v18, s0, v16, s7
	v_add_co_ci_u32_e64 v19, s0, s6, v17, s0
	s_mul_i32 s2, s9, 0x180
	v_add_co_u32 v10, s0, v20, v10
	v_mad_u64_u32 v[22:23], null, 0x180, s8, v[18:19]
	v_add_co_ci_u32_e64 v11, s0, v21, v11, s0
	global_load_dwordx2 v[6:7], v[6:7], off
	global_load_dwordx2 v[20:21], v76, s[14:15]
	s_clause 0x2
	global_load_dwordx2 v[8:9], v[8:9], off
	global_load_dwordx2 v[4:5], v[4:5], off
	;; [unrolled: 1-line block ×3, first 2 shown]
	s_clause 0x2
	global_load_dwordx2 v[24:25], v76, s[14:15] offset:192
	global_load_dwordx2 v[26:27], v76, s[14:15] offset:384
	;; [unrolled: 1-line block ×3, first 2 shown]
	global_load_dwordx2 v[12:13], v[12:13], off
	v_add_nc_u32_e32 v23, s2, v23
	v_add_co_u32 v30, s0, v22, s7
	s_clause 0x1
	global_load_dwordx2 v[16:17], v[16:17], off
	global_load_dwordx2 v[18:19], v[18:19], off
	s_clause 0x2
	global_load_dwordx2 v[34:35], v76, s[14:15] offset:960
	global_load_dwordx2 v[36:37], v76, s[14:15] offset:1152
	global_load_dwordx2 v[38:39], v76, s[14:15] offset:1344
	v_add_co_ci_u32_e64 v31, s0, s6, v23, s0
	v_add_co_u32 v32, s0, v30, s7
	global_load_dwordx2 v[42:43], v76, s[14:15] offset:1728
	global_load_dwordx2 v[22:23], v[22:23], off
	v_add_co_ci_u32_e64 v33, s0, s6, v31, s0
	v_add_co_u32 v45, s0, 0x800, v45
	v_add_co_ci_u32_e64 v46, s0, 0, v46, s0
	v_mad_u64_u32 v[40:41], null, 0x180, s8, v[32:33]
	global_load_dwordx2 v[30:31], v[30:31], off
	global_load_dwordx2 v[32:33], v[32:33], off
	v_add_nc_u32_e32 v41, s2, v41
	v_add_co_u32 v47, s0, v40, s7
	v_add_co_ci_u32_e64 v48, s0, s6, v41, s0
	v_add_co_u32 v49, s0, v47, s7
	global_load_dwordx2 v[40:41], v[40:41], off
	v_add_co_ci_u32_e64 v50, s0, s6, v48, s0
	global_load_dwordx2 v[51:52], v76, s[14:15] offset:1920
	global_load_dwordx2 v[47:48], v[47:48], off
	global_load_dwordx2 v[45:46], v[45:46], off offset:64
	global_load_dwordx2 v[49:50], v[49:50], off
	s_waitcnt vmcnt(19)
	v_mul_f32_e32 v59, v4, v3
	s_waitcnt vmcnt(18)
	v_mul_f32_e32 v60, v10, v15
	v_mul_f32_e32 v54, v6, v21
	;; [unrolled: 1-line block ×7, first 2 shown]
	v_fmac_f32_e32 v53, v6, v20
	v_fma_f32 v56, v9, v0, -v21
	v_fmac_f32_e32 v55, v8, v0
	v_fmac_f32_e32 v1, v4, v2
	s_waitcnt vmcnt(14)
	v_mul_f32_e32 v6, v13, v25
	v_fma_f32 v2, v5, v2, -v59
	v_mul_f32_e32 v0, v12, v25
	s_waitcnt vmcnt(13)
	v_mul_f32_e32 v8, v17, v27
	v_mul_f32_e32 v5, v16, v27
	v_fma_f32 v4, v11, v14, -v60
	v_fmac_f32_e32 v3, v10, v14
	s_waitcnt vmcnt(12)
	v_mul_f32_e32 v10, v19, v29
	v_mul_f32_e32 v11, v18, v29
	v_fma_f32 v54, v7, v20, -v54
	v_fmac_f32_e32 v6, v12, v24
	v_fma_f32 v7, v13, v24, -v0
	v_fmac_f32_e32 v8, v16, v26
	v_fma_f32 v9, v17, v26, -v5
	s_waitcnt vmcnt(7)
	v_mul_f32_e32 v0, v22, v35
	v_fmac_f32_e32 v10, v18, v28
	v_fma_f32 v11, v19, v28, -v11
	ds_write_b64 v57, v[53:54]
	ds_write2_b64 v58, v[6:7], v[8:9] offset0:24 offset1:48
	ds_write2_b64 v58, v[10:11], v[55:56] offset0:72 offset1:96
	v_fma_f32 v6, v23, v34, -v0
	s_waitcnt vmcnt(6)
	v_mul_f32_e32 v0, v30, v37
	v_mul_f32_e32 v5, v23, v35
	v_mul_f32_e32 v7, v31, v37
	s_waitcnt vmcnt(5)
	v_mul_f32_e32 v9, v33, v39
	v_mul_f32_e32 v10, v32, v39
	s_waitcnt vmcnt(4)
	v_mul_f32_e32 v11, v41, v43
	v_fma_f32 v8, v31, v36, -v0
	v_mul_f32_e32 v0, v40, v43
	s_waitcnt vmcnt(2)
	v_mul_f32_e32 v13, v48, v52
	v_mul_f32_e32 v14, v47, v52
	s_waitcnt vmcnt(0)
	v_mul_f32_e32 v15, v50, v46
	v_mul_f32_e32 v16, v49, v46
	v_fmac_f32_e32 v5, v22, v34
	v_fmac_f32_e32 v7, v30, v36
	v_fmac_f32_e32 v9, v32, v38
	v_fma_f32 v10, v33, v38, -v10
	v_fmac_f32_e32 v11, v40, v42
	v_fma_f32 v12, v41, v42, -v0
	v_fmac_f32_e32 v13, v47, v51
	v_fma_f32 v14, v48, v51, -v14
	v_fmac_f32_e32 v15, v49, v45
	v_fma_f32 v16, v50, v45, -v16
	v_add_nc_u32_e32 v0, 0x800, v58
	ds_write2_b64 v58, v[5:6], v[7:8] offset0:120 offset1:144
	ds_write2_b64 v58, v[9:10], v[1:2] offset0:168 offset1:192
	;; [unrolled: 1-line block ×4, first 2 shown]
.LBB0_3:
	s_or_b32 exec_lo, exec_lo, s1
	s_clause 0x1
	s_load_dwordx2 s[6:7], s[4:5], 0x20
	s_load_dwordx2 s[2:3], s[4:5], 0x8
	v_mov_b32_e32 v0, 0
	v_mov_b32_e32 v1, 0
                                        ; kill: def $vgpr2 killed $sgpr0 killed $exec
	s_waitcnt lgkmcnt(0)
	s_barrier
	buffer_gl0_inv
                                        ; implicit-def: $vgpr14
                                        ; implicit-def: $vgpr6
                                        ; implicit-def: $vgpr24
                                        ; implicit-def: $vgpr10
                                        ; implicit-def: $vgpr18
                                        ; implicit-def: $vgpr22
	s_and_saveexec_b32 s0, vcc_lo
	s_cbranch_execz .LBB0_5
; %bb.4:
	v_lshl_add_u32 v24, v75, 3, v76
	v_add_nc_u32_e32 v4, 0x400, v24
	ds_read2_b64 v[0:3], v24 offset1:24
	ds_read2_b64 v[20:23], v24 offset0:48 offset1:72
	ds_read2_b64 v[16:19], v24 offset0:96 offset1:120
	;; [unrolled: 1-line block ×5, first 2 shown]
	ds_read_b64 v[24:25], v24 offset:2304
.LBB0_5:
	s_or_b32 exec_lo, exec_lo, s0
	s_waitcnt lgkmcnt(0)
	v_sub_f32_e32 v52, v3, v25
	v_sub_f32_e32 v56, v2, v24
	v_add_f32_e32 v26, v24, v2
	v_add_f32_e32 v29, v25, v3
	v_sub_f32_e32 v54, v21, v7
	v_mul_f32_e32 v38, 0xbeedf032, v52
	v_mul_f32_e32 v42, 0xbeedf032, v56
	v_add_f32_e32 v27, v6, v20
	v_sub_f32_e32 v59, v20, v6
	v_mul_f32_e32 v39, 0xbf52af12, v54
	v_fmamk_f32 v30, v26, 0x3f62ad3f, v38
	v_fma_f32 v31, 0x3f62ad3f, v29, -v42
	v_add_f32_e32 v28, v7, v21
	v_mul_f32_e32 v47, 0xbf52af12, v59
	v_sub_f32_e32 v55, v23, v5
	v_add_f32_e32 v32, v30, v0
	v_add_f32_e32 v33, v31, v1
	v_fmamk_f32 v31, v27, 0x3f116cb1, v39
	v_sub_f32_e32 v60, v22, v4
	v_fma_f32 v34, 0x3f116cb1, v28, -v47
	v_add_f32_e32 v30, v4, v22
	v_mul_f32_e32 v40, 0xbf7e222b, v55
	v_add_f32_e32 v35, v31, v32
	v_add_f32_e32 v31, v5, v23
	v_mul_f32_e32 v48, 0xbf7e222b, v60
	v_sub_f32_e32 v58, v17, v11
	v_add_f32_e32 v34, v34, v33
	v_fmamk_f32 v36, v30, 0x3df6dbef, v40
	v_sub_f32_e32 v62, v16, v10
	v_fma_f32 v37, 0x3df6dbef, v31, -v48
	v_add_f32_e32 v32, v10, v16
	v_mul_f32_e32 v41, 0xbf6f5d39, v58
	v_add_f32_e32 v33, v11, v17
	v_mul_f32_e32 v49, 0xbf6f5d39, v62
	v_add_f32_e32 v35, v36, v35
	v_sub_f32_e32 v57, v19, v9
	v_add_f32_e32 v36, v37, v34
	v_fmamk_f32 v37, v32, 0xbeb58ec6, v41
	v_sub_f32_e32 v63, v18, v8
	v_fma_f32 v45, 0xbeb58ec6, v33, -v49
	v_add_f32_e32 v34, v8, v18
	v_mul_f32_e32 v43, 0xbf29c268, v57
	v_add_f32_e32 v46, v37, v35
	v_add_f32_e32 v35, v9, v19
	v_mul_f32_e32 v51, 0xbf29c268, v63
	v_sub_f32_e32 v61, v13, v15
	v_sub_f32_e32 v64, v12, v14
	v_add_f32_e32 v45, v45, v36
	v_fmamk_f32 v65, v34, 0xbf3f9e67, v43
	v_fma_f32 v66, 0xbf3f9e67, v35, -v51
	v_add_f32_e32 v36, v14, v12
	v_mul_f32_e32 v50, 0xbe750f2a, v61
	v_add_f32_e32 v37, v15, v13
	v_mul_f32_e32 v53, 0xbe750f2a, v64
	v_add_f32_e32 v46, v65, v46
	v_add_f32_e32 v65, v66, v45
	v_fmamk_f32 v45, v36, 0xbf788fa5, v50
	v_mul_lo_u16 v78, v74, 13
	v_fma_f32 v66, 0xbf788fa5, v37, -v53
	s_barrier
	v_add_f32_e32 v45, v45, v46
	buffer_gl0_inv
	v_add_f32_e32 v46, v66, v65
	s_and_saveexec_b32 s0, vcc_lo
	s_cbranch_execz .LBB0_7
; %bb.6:
	v_mul_f32_e32 v68, 0x3df6dbef, v29
	v_add_f32_e32 v3, v3, v1
	v_mul_f32_e32 v67, 0xbf788fa5, v28
	v_add_f32_e32 v2, v2, v0
	v_mul_f32_e32 v66, 0xbeb58ec6, v31
	v_fmamk_f32 v69, v56, 0x3f7e222b, v68
	v_add_f32_e32 v3, v21, v3
	v_mul_f32_e32 v70, 0xbf7e222b, v52
	v_fmamk_f32 v80, v59, 0x3e750f2a, v67
	v_add_f32_e32 v2, v20, v2
	v_add_f32_e32 v69, v69, v1
	;; [unrolled: 1-line block ×3, first 2 shown]
	v_mul_f32_e32 v65, 0x3f62ad3f, v33
	v_mul_f32_e32 v79, 0xbe750f2a, v54
	v_fmamk_f32 v21, v60, 0xbf6f5d39, v66
	v_add_f32_e32 v69, v80, v69
	v_fmamk_f32 v80, v26, 0x3df6dbef, v70
	v_add_f32_e32 v2, v22, v2
	v_add_f32_e32 v3, v17, v3
	v_mul_f32_e32 v82, 0x3f6f5d39, v55
	v_fmamk_f32 v20, v62, 0xbeedf032, v65
	v_fmamk_f32 v83, v27, 0xbf788fa5, v79
	v_add_f32_e32 v21, v21, v69
	v_add_f32_e32 v69, v80, v0
	;; [unrolled: 1-line block ×4, first 2 shown]
	v_mul_f32_e32 v81, 0x3f116cb1, v35
	v_add_f32_e32 v20, v20, v21
	v_add_f32_e32 v21, v83, v69
	v_fmamk_f32 v22, v30, 0xbeb58ec6, v82
	v_add_f32_e32 v2, v18, v2
	v_mul_f32_e32 v19, 0xbeb58ec6, v29
	v_add_f32_e32 v3, v13, v3
	v_fmamk_f32 v80, v63, 0x3f52af12, v81
	v_mul_f32_e32 v23, 0x3eedf032, v58
	v_add_f32_e32 v17, v22, v21
	v_add_f32_e32 v2, v12, v2
	v_fmamk_f32 v12, v56, 0x3f6f5d39, v19
	v_mul_f32_e32 v21, 0xbf3f9e67, v28
	v_add_f32_e32 v3, v15, v3
	v_add_f32_e32 v16, v80, v20
	v_fmamk_f32 v20, v32, 0x3f62ad3f, v23
	v_add_f32_e32 v2, v14, v2
	v_add_f32_e32 v12, v12, v1
	v_fmamk_f32 v14, v59, 0xbf29c268, v21
	v_add_f32_e32 v3, v9, v3
	v_mul_f32_e32 v15, 0xbf6f5d39, v52
	v_add_f32_e32 v17, v20, v17
	v_mul_f32_e32 v20, 0xbf52af12, v57
	v_mul_f32_e32 v22, 0x3f62ad3f, v31
	v_add_f32_e32 v2, v8, v2
	v_add_f32_e32 v8, v14, v12
	;; [unrolled: 1-line block ×3, first 2 shown]
	v_fmamk_f32 v3, v26, 0xbeb58ec6, v15
	v_mul_f32_e32 v14, 0x3f29c268, v54
	v_mul_f32_e32 v18, 0xbf3f9e67, v37
	v_fmamk_f32 v13, v34, 0x3f116cb1, v20
	v_fmamk_f32 v9, v60, 0xbeedf032, v22
	v_add_f32_e32 v83, v10, v2
	v_mul_f32_e32 v84, 0x3df6dbef, v33
	v_add_f32_e32 v3, v3, v0
	v_fmamk_f32 v10, v27, 0xbf3f9e67, v14
	v_mul_f32_e32 v85, 0x3eedf032, v55
	v_mul_f32_e32 v69, 0xbf29c268, v61
	v_fmamk_f32 v2, v64, 0x3f29c268, v18
	v_add_f32_e32 v11, v13, v17
	v_add_f32_e32 v8, v9, v8
	;; [unrolled: 1-line block ×3, first 2 shown]
	v_fmamk_f32 v10, v30, 0x3f62ad3f, v85
	v_mul_f32_e32 v17, 0xbf7e222b, v58
	v_fmamk_f32 v13, v62, 0x3f7e222b, v84
	v_mul_f32_e32 v86, 0xbf788fa5, v35
	v_fmamk_f32 v12, v36, 0xbf3f9e67, v69
	v_add_f32_e32 v3, v2, v16
	v_add_f32_e32 v2, v10, v9
	v_fmamk_f32 v9, v32, 0x3df6dbef, v17
	v_mul_f32_e32 v16, 0x3e750f2a, v57
	v_add_f32_e32 v8, v13, v8
	v_fmamk_f32 v10, v63, 0xbe750f2a, v86
	v_mul_f32_e32 v13, 0xbf3f9e67, v29
	v_add_f32_e32 v9, v9, v2
	v_fmamk_f32 v87, v34, 0xbf788fa5, v16
	v_add_f32_e32 v2, v12, v11
	v_add_f32_e32 v8, v10, v8
	v_fmamk_f32 v10, v56, 0x3f29c268, v13
	v_mul_f32_e32 v12, 0x3df6dbef, v28
	v_add_f32_e32 v11, v87, v9
	v_mul_f32_e32 v87, 0x3f116cb1, v37
	v_mul_f32_e32 v88, 0xbf29c268, v52
	v_add_f32_e32 v9, v10, v1
	v_fmamk_f32 v10, v59, 0xbf7e222b, v12
	v_mul_f32_e32 v89, 0x3f116cb1, v31
	v_fmamk_f32 v90, v64, 0xbf52af12, v87
	v_fmamk_f32 v91, v26, 0xbf3f9e67, v88
	v_mul_f32_e32 v92, 0x3f7e222b, v54
	v_add_f32_e32 v10, v10, v9
	v_fmamk_f32 v93, v60, 0x3f52af12, v89
	v_mul_f32_e32 v94, 0xbf788fa5, v33
	v_fma_f32 v88, 0xbf3f9e67, v26, -v88
	v_add_f32_e32 v91, v91, v0
	v_fmamk_f32 v95, v27, 0x3df6dbef, v92
	v_mul_f32_e32 v96, 0xbf52af12, v55
	v_add_f32_e32 v9, v90, v8
	v_add_f32_e32 v8, v93, v10
	v_fmamk_f32 v10, v62, 0xbe750f2a, v94
	v_mul_f32_e32 v97, 0x3f62ad3f, v35
	v_add_f32_e32 v88, v88, v0
	v_fma_f32 v92, 0x3df6dbef, v27, -v92
	v_add_f32_e32 v90, v95, v91
	v_fmamk_f32 v91, v30, 0x3f116cb1, v96
	v_mul_f32_e32 v93, 0x3e750f2a, v58
	v_mul_f32_e32 v95, 0x3f52af12, v61
	v_add_f32_e32 v8, v10, v8
	v_fmamk_f32 v98, v63, 0xbeedf032, v97
	v_mul_f32_e32 v99, 0xbeb58ec6, v37
	v_add_f32_e32 v88, v92, v88
	v_fma_f32 v92, 0x3f116cb1, v30, -v96
	v_add_f32_e32 v10, v91, v90
	v_fmamk_f32 v90, v32, 0xbf788fa5, v93
	v_mul_f32_e32 v91, 0x3eedf032, v57
	v_fmamk_f32 v100, v36, 0x3f116cb1, v95
	v_add_f32_e32 v98, v98, v8
	v_fmamk_f32 v101, v64, 0x3f6f5d39, v99
	v_add_f32_e32 v88, v92, v88
	v_fma_f32 v92, 0xbf788fa5, v32, -v93
	v_fmac_f32_e32 v19, 0xbf6f5d39, v56
	v_fma_f32 v15, 0xbeb58ec6, v26, -v15
	v_add_f32_e32 v10, v90, v10
	v_fmamk_f32 v90, v34, 0x3f62ad3f, v91
	v_add_f32_e32 v8, v100, v11
	v_add_f32_e32 v11, v101, v98
	v_mul_f32_e32 v101, 0xbf6f5d39, v61
	v_add_f32_e32 v88, v92, v88
	v_fma_f32 v91, 0x3f62ad3f, v34, -v91
	v_add_f32_e32 v19, v19, v1
	v_fmac_f32_e32 v21, 0x3f29c268, v59
	v_add_f32_e32 v15, v15, v0
	v_fma_f32 v14, 0xbf3f9e67, v27, -v14
	v_add_f32_e32 v88, v91, v88
	v_fmac_f32_e32 v22, 0x3eedf032, v60
	v_add_f32_e32 v19, v21, v19
	v_fma_f32 v21, 0xbeb58ec6, v36, -v101
	v_add_f32_e32 v91, v14, v15
	v_fma_f32 v85, 0x3f62ad3f, v30, -v85
	v_fma_f32 v17, 0x3df6dbef, v32, -v17
	v_add_f32_e32 v19, v22, v19
	v_add_f32_e32 v14, v21, v88
	v_fmac_f32_e32 v68, 0xbf7e222b, v56
	v_add_f32_e32 v21, v85, v91
	v_fma_f32 v22, 0x3df6dbef, v26, -v70
	v_fmac_f32_e32 v84, 0xbf7e222b, v62
	v_fmac_f32_e32 v67, 0xbe750f2a, v59
	v_fma_f32 v16, 0xbf788fa5, v34, -v16
	v_add_f32_e32 v17, v17, v21
	v_add_f32_e32 v21, v68, v1
	v_add_f32_e32 v22, v22, v0
	v_fma_f32 v68, 0xbf788fa5, v27, -v79
	v_add_f32_e32 v19, v84, v19
	v_fmac_f32_e32 v86, 0x3e750f2a, v63
	v_add_f32_e32 v21, v67, v21
	v_fmac_f32_e32 v66, 0x3f6f5d39, v60
	v_add_f32_e32 v16, v16, v17
	v_add_f32_e32 v17, v68, v22
	v_fma_f32 v22, 0xbeb58ec6, v30, -v82
	v_mul_f32_e32 v102, 0xbe750f2a, v56
	v_fmac_f32_e32 v13, 0xbf29c268, v56
	v_add_f32_e32 v19, v86, v19
	v_fmac_f32_e32 v87, 0x3f52af12, v64
	v_add_f32_e32 v21, v66, v21
	;; [unrolled: 2-line block ×3, first 2 shown]
	v_fma_f32 v23, 0x3f62ad3f, v32, -v23
	v_mul_f32_e32 v56, 0xbf52af12, v56
	v_add_f32_e32 v10, v90, v10
	v_mul_f32_e32 v90, 0xbe750f2a, v52
	v_mul_f32_e32 v100, 0x3eedf032, v59
	v_fmac_f32_e32 v12, 0x3f7e222b, v59
	v_add_f32_e32 v17, v87, v19
	v_add_f32_e32 v19, v65, v21
	;; [unrolled: 1-line block ×3, first 2 shown]
	v_fma_f32 v20, 0x3f116cb1, v34, -v20
	v_fmamk_f32 v22, v29, 0x3f116cb1, v56
	v_mul_f32_e32 v59, 0xbf6f5d39, v59
	v_mul_f32_e32 v52, 0xbf52af12, v52
	v_fmamk_f32 v98, v29, 0xbf788fa5, v102
	v_mul_f32_e32 v104, 0x3eedf032, v54
	v_mul_f32_e32 v106, 0xbf29c268, v60
	v_fmac_f32_e32 v89, 0xbf52af12, v60
	v_fma_f32 v66, 0x3f116cb1, v36, -v95
	v_add_f32_e32 v20, v20, v21
	v_add_f32_e32 v21, v22, v1
	v_fmamk_f32 v22, v28, 0xbeb58ec6, v59
	v_mul_f32_e32 v60, 0xbe750f2a, v60
	v_fma_f32 v23, 0x3f116cb1, v26, -v52
	v_mul_f32_e32 v54, 0xbf6f5d39, v54
	v_fma_f32 v103, 0xbf788fa5, v26, -v90
	v_add_f32_e32 v98, v98, v1
	v_fmamk_f32 v105, v28, 0x3f62ad3f, v100
	v_mul_f32_e32 v108, 0xbf29c268, v55
	v_fmac_f32_e32 v81, 0xbf52af12, v63
	v_add_f32_e32 v16, v66, v16
	v_add_f32_e32 v21, v22, v21
	v_fmamk_f32 v22, v31, 0xbf788fa5, v60
	v_add_f32_e32 v23, v23, v0
	v_fma_f32 v66, 0xbeb58ec6, v27, -v54
	v_mul_f32_e32 v55, 0xbe750f2a, v55
	v_add_f32_e32 v103, v103, v0
	v_fma_f32 v107, 0x3f62ad3f, v27, -v104
	v_add_f32_e32 v98, v105, v98
	v_fmamk_f32 v105, v31, 0xbf3f9e67, v106
	v_mul_f32_e32 v109, 0x3f52af12, v62
	v_mul_f32_e32 v110, 0x3f52af12, v58
	v_add_f32_e32 v19, v81, v19
	v_fmac_f32_e32 v18, 0xbf29c268, v64
	v_fma_f32 v65, 0xbf3f9e67, v36, -v69
	v_add_f32_e32 v21, v22, v21
	v_add_f32_e32 v22, v66, v23
	v_fma_f32 v23, 0xbf788fa5, v30, -v55
	v_mul_f32_e32 v58, 0x3f29c268, v58
	v_add_f32_e32 v103, v107, v103
	v_fma_f32 v107, 0xbf3f9e67, v30, -v108
	v_add_f32_e32 v98, v105, v98
	v_fmamk_f32 v105, v33, 0x3f116cb1, v109
	v_mul_f32_e32 v111, 0xbf6f5d39, v63
	v_fmac_f32_e32 v94, 0x3e750f2a, v62
	v_add_f32_e32 v19, v18, v19
	v_mul_f32_e32 v62, 0x3f29c268, v62
	v_add_f32_e32 v18, v65, v20
	v_add_f32_e32 v20, v23, v22
	v_fma_f32 v22, 0xbf3f9e67, v32, -v58
	v_mul_f32_e32 v23, 0x3f62ad3f, v29
	v_add_f32_e32 v103, v107, v103
	v_fma_f32 v107, 0x3f116cb1, v32, -v110
	v_mul_f32_e32 v112, 0xbf6f5d39, v57
	v_add_f32_e32 v98, v105, v98
	v_fmamk_f32 v105, v35, 0xbeb58ec6, v111
	v_fmac_f32_e32 v97, 0x3eedf032, v63
	v_fmamk_f32 v66, v33, 0xbf3f9e67, v62
	v_mul_f32_e32 v63, 0x3f7e222b, v63
	v_mul_f32_e32 v57, 0x3f7e222b, v57
	v_add_f32_e32 v20, v22, v20
	v_mul_f32_e32 v22, 0x3f116cb1, v28
	v_add_f32_e32 v23, v42, v23
	v_add_f32_e32 v103, v107, v103
	v_fma_f32 v107, 0xbeb58ec6, v34, -v112
	v_add_f32_e32 v98, v105, v98
	v_mul_f32_e32 v105, 0x3f7e222b, v64
	v_fmac_f32_e32 v99, 0xbf6f5d39, v64
	v_add_f32_e32 v21, v66, v21
	v_fmamk_f32 v65, v35, 0x3df6dbef, v63
	v_fma_f32 v42, 0x3df6dbef, v34, -v57
	v_mul_f32_e32 v64, 0x3eedf032, v64
	v_add_f32_e32 v22, v47, v22
	v_add_f32_e32 v23, v23, v1
	;; [unrolled: 1-line block ×3, first 2 shown]
	v_mul_f32_e32 v107, 0x3f7e222b, v61
	v_add_f32_e32 v21, v65, v21
	v_add_f32_e32 v20, v42, v20
	v_mul_f32_e32 v42, 0x3df6dbef, v31
	v_mul_f32_e32 v47, 0x3eedf032, v61
	v_fmamk_f32 v61, v37, 0x3f62ad3f, v64
	v_add_f32_e32 v22, v22, v23
	v_mul_f32_e32 v23, 0x3f62ad3f, v26
	v_add_f32_e32 v42, v48, v42
	v_mul_f32_e32 v48, 0xbeb58ec6, v33
	;; [unrolled: 2-line block ×3, first 2 shown]
	v_sub_f32_e32 v23, v23, v38
	v_add_f32_e32 v22, v42, v22
	v_add_f32_e32 v38, v49, v48
	v_mul_f32_e32 v42, 0xbf3f9e67, v35
	v_sub_f32_e32 v39, v61, v39
	v_add_f32_e32 v23, v23, v0
	v_mul_f32_e32 v48, 0x3df6dbef, v30
	v_add_f32_e32 v22, v38, v22
	v_add_f32_e32 v38, v51, v42
	;; [unrolled: 1-line block ×4, first 2 shown]
	v_sub_f32_e32 v39, v48, v40
	v_mul_f32_e32 v40, 0xbeb58ec6, v32
	v_add_f32_e32 v22, v38, v22
	v_mul_f32_e32 v38, 0xbf788fa5, v37
	v_fma_f32 v48, 0x3f62ad3f, v28, -v100
	v_add_f32_e32 v23, v39, v23
	v_fma_f32 v39, 0xbf788fa5, v29, -v102
	v_sub_f32_e32 v40, v40, v41
	v_add_f32_e32 v38, v53, v38
	v_add_f32_e32 v5, v5, v80
	;; [unrolled: 1-line block ×6, first 2 shown]
	v_fma_f32 v38, 0xbf3f9e67, v31, -v106
	v_add_f32_e32 v5, v7, v5
	v_add_f32_e32 v22, v48, v39
	v_fmac_f32_e32 v90, 0xbf788fa5, v26
	v_add_f32_e32 v4, v24, v4
	v_fma_f32 v24, 0x3f116cb1, v29, -v56
	v_fmac_f32_e32 v52, 0x3f116cb1, v26
	v_add_f32_e32 v7, v38, v22
	v_fma_f32 v38, 0x3f116cb1, v33, -v109
	v_add_f32_e32 v13, v13, v1
	v_add_f32_e32 v5, v25, v5
	;; [unrolled: 1-line block ×3, first 2 shown]
	v_fmac_f32_e32 v104, 0x3f62ad3f, v27
	v_add_f32_e32 v6, v38, v7
	v_fma_f32 v7, 0xbeb58ec6, v35, -v111
	v_add_f32_e32 v1, v24, v1
	v_fma_f32 v24, 0xbeb58ec6, v28, -v59
	v_add_f32_e32 v0, v52, v0
	v_fmac_f32_e32 v54, 0xbeb58ec6, v27
	v_add_f32_e32 v12, v12, v13
	v_add_f32_e32 v6, v7, v6
	;; [unrolled: 1-line block ×3, first 2 shown]
	v_fmac_f32_e32 v108, 0xbf3f9e67, v30
	v_mul_f32_e32 v41, 0xbf3f9e67, v34
	v_add_f32_e32 v1, v24, v1
	v_fma_f32 v24, 0xbf788fa5, v31, -v60
	v_add_f32_e32 v0, v54, v0
	v_fmac_f32_e32 v55, 0xbf788fa5, v30
	v_add_f32_e32 v89, v89, v12
	v_add_f32_e32 v7, v108, v7
	v_fmac_f32_e32 v110, 0x3f116cb1, v32
	v_mul_f32_e32 v42, 0xbf788fa5, v36
	v_sub_f32_e32 v41, v41, v43
	v_add_f32_e32 v1, v24, v1
	v_fma_f32 v24, 0xbf3f9e67, v33, -v62
	v_add_f32_e32 v0, v55, v0
	v_fmac_f32_e32 v58, 0xbf3f9e67, v32
	v_add_f32_e32 v89, v94, v89
	v_add_f32_e32 v7, v110, v7
	v_fmac_f32_e32 v112, 0xbeb58ec6, v34
	v_add_f32_e32 v39, v41, v40
	v_sub_f32_e32 v40, v42, v50
	v_add_f32_e32 v1, v24, v1
	v_fma_f32 v24, 0x3df6dbef, v35, -v63
	v_add_f32_e32 v0, v58, v0
	v_fmac_f32_e32 v57, 0x3df6dbef, v34
	v_and_b32_e32 v26, 0xffff, v78
	v_fma_f32 v49, 0x3f62ad3f, v36, -v47
	v_add_f32_e32 v89, v97, v89
	v_fmamk_f32 v13, v37, 0x3df6dbef, v105
	v_fma_f32 v96, 0x3df6dbef, v36, -v107
	v_fma_f32 v25, 0x3df6dbef, v37, -v105
	v_add_f32_e32 v7, v112, v7
	v_fmac_f32_e32 v107, 0x3df6dbef, v36
	v_fmamk_f32 v113, v36, 0xbeb58ec6, v101
	v_add_f32_e32 v22, v40, v39
	v_add_f32_e32 v24, v24, v1
	v_fma_f32 v27, 0x3f62ad3f, v37, -v64
	v_add_f32_e32 v28, v57, v0
	v_fmac_f32_e32 v47, 0x3f62ad3f, v36
	v_add_lshl_u32 v26, v75, v26, 3
	v_add_f32_e32 v20, v49, v20
	v_add_f32_e32 v15, v99, v89
	;; [unrolled: 1-line block ×9, first 2 shown]
	ds_write2_b64 v26, v[4:5], v[22:23] offset1:1
	ds_write2_b64 v26, v[20:21], v[18:19] offset0:2 offset1:3
	ds_write2_b64 v26, v[16:17], v[14:15] offset0:4 offset1:5
	;; [unrolled: 1-line block ×5, first 2 shown]
	ds_write_b64 v26, v[45:46] offset:96
.LBB0_7:
	s_or_b32 exec_lo, exec_lo, s0
	v_add_co_u32 v33, null, v74, 26
	v_add_nc_u32_e32 v0, -13, v74
	v_cmp_gt_u16_e64 s0, 13, v74
	v_add_nc_u16 v2, v74, 52
	v_and_b32_e32 v3, 0xff, v33
	s_load_dwordx4 s[4:7], s[6:7], 0x0
	s_waitcnt lgkmcnt(0)
	v_cndmask_b32_e64 v32, v0, v74, s0
	v_and_b32_e32 v8, 0xff, v2
	v_mul_lo_u16 v3, 0x4f, v3
	s_barrier
	buffer_gl0_inv
	v_mul_i32_i24_e32 v0, 24, v32
	v_mul_hi_i32_i24_e32 v1, 24, v32
	v_lshrrev_b16 v28, 10, v3
	v_mul_lo_u16 v3, 0x4f, v8
	v_add_lshl_u32 v80, v75, v74, 3
	v_add_co_u32 v0, s0, s2, v0
	v_add_co_ci_u32_e64 v1, s0, s3, v1, s0
	v_lshrrev_b16 v29, 10, v3
	v_mov_b32_e32 v30, 52
	v_cmp_lt_u16_e64 s0, 12, v74
	s_clause 0x1
	global_load_dwordx4 v[4:7], v[0:1], off
	global_load_dwordx2 v[51:52], v[0:1], off offset:16
	v_mul_lo_u16 v0, v28, 13
	v_mul_lo_u16 v1, v29, 13
	v_cndmask_b32_e64 v36, 0, 52, s0
	v_mul_u32_u24_sdwa v38, v28, v30 dst_sel:DWORD dst_unused:UNUSED_PAD src0_sel:WORD_0 src1_sel:DWORD
	v_mul_u32_u24_sdwa v39, v29, v30 dst_sel:DWORD dst_unused:UNUSED_PAD src0_sel:WORD_0 src1_sel:DWORD
	v_sub_nc_u16 v0, v33, v0
	v_sub_nc_u16 v2, v2, v1
	v_add_nc_u32_e32 v65, 0x800, v80
	v_add_nc_u32_e32 v36, v32, v36
	v_lshlrev_b32_e32 v40, 4, v33
	v_and_b32_e32 v34, 0xff, v0
	v_and_b32_e32 v35, 0xff, v2
	v_lshlrev_b32_e32 v37, 4, v74
	v_add_lshl_u32 v84, v75, v36, 3
	v_lshlrev_b32_e32 v79, 3, v74
	v_mad_u64_u32 v[0:1], null, v34, 24, s[2:3]
	v_mad_u64_u32 v[12:13], null, v35, 24, s[2:3]
	s_clause 0x3
	global_load_dwordx4 v[8:11], v[0:1], off
	global_load_dwordx2 v[49:50], v[0:1], off offset:16
	global_load_dwordx4 v[0:3], v[12:13], off
	global_load_dwordx2 v[47:48], v[12:13], off offset:16
	ds_read2_b64 v[12:15], v80 offset0:52 offset1:78
	ds_read2_b64 v[16:19], v80 offset0:156 offset1:182
	;; [unrolled: 1-line block ×3, first 2 shown]
	ds_read2_b64 v[24:27], v80 offset1:26
	v_add_nc_u32_e32 v38, v38, v34
	v_add_nc_u32_e32 v39, v39, v35
	ds_read2_b64 v[28:31], v80 offset0:104 offset1:130
	ds_read2_b64 v[32:35], v65 offset0:4 offset1:30
	s_waitcnt vmcnt(0) lgkmcnt(0)
	v_add_lshl_u32 v83, v75, v38, 3
	v_add_lshl_u32 v82, v75, v39, 3
	s_barrier
	buffer_gl0_inv
	v_mul_f32_e32 v36, v15, v5
	v_mul_f32_e32 v38, v14, v5
	;; [unrolled: 1-line block ×6, first 2 shown]
	v_fma_f32 v14, v14, v4, -v36
	v_fmac_f32_e32 v38, v15, v4
	v_fma_f32 v15, v16, v6, -v39
	v_fmac_f32_e32 v41, v17, v6
	;; [unrolled: 2-line block ×3, first 2 shown]
	v_sub_f32_e32 v22, v24, v15
	v_sub_f32_e32 v23, v25, v41
	;; [unrolled: 1-line block ×4, first 2 shown]
	v_fma_f32 v24, v24, 2.0, -v22
	v_fma_f32 v25, v25, 2.0, -v23
	;; [unrolled: 1-line block ×4, first 2 shown]
	v_sub_f32_e32 v14, v22, v16
	v_mul_f32_e32 v38, v28, v9
	v_mul_f32_e32 v39, v19, v11
	v_sub_f32_e32 v16, v24, v17
	v_sub_f32_e32 v17, v25, v36
	v_mul_f32_e32 v36, v29, v9
	v_mul_f32_e32 v41, v18, v11
	;; [unrolled: 1-line block ×10, first 2 shown]
	v_fma_f32 v28, v28, v8, -v36
	v_fmac_f32_e32 v38, v29, v8
	v_fma_f32 v18, v18, v10, -v39
	v_fmac_f32_e32 v41, v19, v10
	;; [unrolled: 2-line block ×6, first 2 shown]
	v_sub_f32_e32 v30, v26, v18
	v_sub_f32_e32 v31, v27, v41
	;; [unrolled: 1-line block ×8, first 2 shown]
	v_fma_f32 v34, v26, 2.0, -v30
	v_fma_f32 v35, v27, 2.0, -v31
	;; [unrolled: 1-line block ×8, first 2 shown]
	v_add_f32_e32 v15, v23, v15
	v_sub_f32_e32 v18, v30, v18
	v_add_f32_e32 v19, v31, v19
	v_sub_f32_e32 v12, v32, v21
	;; [unrolled: 2-line block ×3, first 2 shown]
	v_sub_f32_e32 v21, v35, v27
	v_sub_f32_e32 v28, v36, v28
	;; [unrolled: 1-line block ×3, first 2 shown]
	v_fma_f32 v22, v22, 2.0, -v14
	v_fma_f32 v23, v23, 2.0, -v15
	;; [unrolled: 1-line block ×12, first 2 shown]
	ds_write2_b64 v84, v[16:17], v[14:15] offset0:26 offset1:39
	ds_write2_b64 v84, v[24:25], v[22:23] offset1:13
	ds_write2_b64 v83, v[20:21], v[18:19] offset0:26 offset1:39
	ds_write2_b64 v83, v[32:33], v[26:27] offset1:13
	ds_write2_b64 v82, v[34:35], v[30:31] offset1:13
	ds_write2_b64 v82, v[28:29], v[12:13] offset0:26 offset1:39
	s_waitcnt lgkmcnt(0)
	s_barrier
	buffer_gl0_inv
	s_clause 0x1
	global_load_dwordx4 v[16:19], v37, s[2:3] offset:312
	global_load_dwordx4 v[12:15], v40, s[2:3] offset:312
	ds_read2_b64 v[20:23], v80 offset0:104 offset1:130
	ds_read2_b64 v[24:27], v80 offset0:208 offset1:234
	;; [unrolled: 1-line block ×4, first 2 shown]
	v_add_co_u32 v36, s0, s2, v37
	v_add_co_ci_u32_e64 v37, null, s3, 0, s0
	v_sub_co_u32 v59, s0, v36, v79
	v_subrev_co_ci_u32_e64 v60, s0, 0, v37, s0
	ds_read2_b64 v[36:39], v80 offset1:26
	ds_read2_b64 v[40:43], v80 offset0:52 offset1:78
	s_waitcnt vmcnt(0) lgkmcnt(0)
	s_barrier
	buffer_gl0_inv
	v_mul_f32_e32 v53, v21, v17
	v_mul_f32_e32 v54, v20, v17
	;; [unrolled: 1-line block ×16, first 2 shown]
	v_fma_f32 v20, v20, v16, -v53
	v_fmac_f32_e32 v54, v21, v16
	v_fma_f32 v21, v24, v18, -v55
	v_fmac_f32_e32 v56, v25, v18
	;; [unrolled: 2-line block ×8, first 2 shown]
	v_add_f32_e32 v28, v20, v21
	v_add_f32_e32 v31, v54, v56
	;; [unrolled: 1-line block ×7, first 2 shown]
	v_sub_f32_e32 v63, v64, v67
	v_add_f32_e32 v66, v41, v64
	v_add_f32_e32 v64, v64, v67
	;; [unrolled: 1-line block ×3, first 2 shown]
	v_sub_f32_e32 v86, v69, v81
	v_add_f32_e32 v87, v43, v69
	v_add_f32_e32 v69, v69, v81
	v_sub_f32_e32 v33, v54, v56
	v_add_f32_e32 v32, v38, v22
	v_add_f32_e32 v54, v39, v58
	;; [unrolled: 3-line block ×3, first 2 shown]
	v_sub_f32_e32 v34, v20, v21
	v_sub_f32_e32 v57, v22, v24
	;; [unrolled: 1-line block ×3, first 2 shown]
	v_fma_f32 v22, -0.5, v28, v36
	v_fma_f32 v23, -0.5, v31, v37
	;; [unrolled: 1-line block ×3, first 2 shown]
	v_fmac_f32_e32 v39, -0.5, v55
	v_sub_f32_e32 v88, v25, v30
	v_add_f32_e32 v20, v27, v21
	v_add_f32_e32 v21, v29, v56
	v_fma_f32 v28, -0.5, v61, v40
	v_fma_f32 v29, -0.5, v64, v41
	;; [unrolled: 1-line block ×3, first 2 shown]
	v_fmac_f32_e32 v43, -0.5, v69
	v_add_f32_e32 v24, v32, v24
	v_add_f32_e32 v25, v54, v62
	;; [unrolled: 1-line block ×6, first 2 shown]
	v_fmamk_f32 v32, v33, 0x3f5db3d7, v22
	v_fmac_f32_e32 v22, 0xbf5db3d7, v33
	v_fmamk_f32 v33, v34, 0xbf5db3d7, v23
	v_fmac_f32_e32 v23, 0x3f5db3d7, v34
	v_fmamk_f32 v34, v53, 0x3f5db3d7, v38
	v_fmamk_f32 v35, v57, 0xbf5db3d7, v39
	v_fmac_f32_e32 v38, 0xbf5db3d7, v53
	v_fmac_f32_e32 v39, 0x3f5db3d7, v57
	v_fmamk_f32 v36, v63, 0x3f5db3d7, v28
	v_fmamk_f32 v37, v68, 0xbf5db3d7, v29
	;; [unrolled: 1-line block ×4, first 2 shown]
	v_fmac_f32_e32 v28, 0xbf5db3d7, v63
	v_fmac_f32_e32 v29, 0x3f5db3d7, v68
	;; [unrolled: 1-line block ×4, first 2 shown]
	ds_write2_b64 v80, v[20:21], v[24:25] offset1:26
	ds_write2_b64 v80, v[26:27], v[30:31] offset0:156 offset1:182
	ds_write2_b64 v80, v[32:33], v[34:35] offset0:52 offset1:78
	ds_write2_b64 v80, v[22:23], v[38:39] offset0:104 offset1:130
	ds_write2_b64 v80, v[36:37], v[40:41] offset0:208 offset1:234
	ds_write2_b64 v65, v[28:29], v[42:43] offset0:4 offset1:30
	v_add_co_u32 v20, s0, 0x800, v59
	v_add_co_ci_u32_e64 v21, s0, 0, v60, s0
	s_waitcnt lgkmcnt(0)
	s_barrier
	buffer_gl0_inv
	s_clause 0x5
	global_load_dwordx2 v[55:56], v[59:60], off offset:1144
	global_load_dwordx2 v[57:58], v[59:60], off offset:1352
	;; [unrolled: 1-line block ×6, first 2 shown]
	ds_read2_b64 v[20:23], v80 offset0:156 offset1:182
	ds_read2_b64 v[24:27], v80 offset0:208 offset1:234
	;; [unrolled: 1-line block ×3, first 2 shown]
	ds_read2_b64 v[66:69], v80 offset1:26
	ds_read2_b64 v[85:88], v80 offset0:52 offset1:78
	ds_read2_b64 v[89:92], v80 offset0:104 offset1:130
	v_lshl_add_u32 v81, v74, 3, v77
	v_add_nc_u32_e32 v65, v79, v77
	s_waitcnt vmcnt(5) lgkmcnt(5)
	v_mul_f32_e32 v32, v21, v56
	v_mul_f32_e32 v33, v20, v56
	s_waitcnt vmcnt(4)
	v_mul_f32_e32 v34, v23, v58
	v_mul_f32_e32 v35, v22, v58
	s_waitcnt vmcnt(3) lgkmcnt(4)
	v_mul_f32_e32 v36, v25, v54
	v_mul_f32_e32 v37, v24, v54
	s_waitcnt vmcnt(2)
	v_mul_f32_e32 v38, v27, v64
	v_mul_f32_e32 v40, v26, v64
	;; [unrolled: 6-line block ×3, first 2 shown]
	v_fma_f32 v20, v20, v55, -v32
	v_fmac_f32_e32 v33, v21, v55
	v_fma_f32 v21, v22, v57, -v34
	v_fmac_f32_e32 v35, v23, v57
	;; [unrolled: 2-line block ×6, first 2 shown]
	s_waitcnt lgkmcnt(2)
	v_sub_f32_e32 v22, v66, v20
	v_sub_f32_e32 v23, v67, v33
	v_sub_f32_e32 v42, v68, v21
	v_sub_f32_e32 v43, v69, v35
	s_waitcnt lgkmcnt(1)
	v_sub_f32_e32 v38, v85, v24
	v_sub_f32_e32 v39, v86, v37
	v_sub_f32_e32 v34, v87, v25
	v_sub_f32_e32 v35, v88, v40
	s_waitcnt lgkmcnt(0)
	v_sub_f32_e32 v30, v89, v26
	v_sub_f32_e32 v31, v90, v41
	v_sub_f32_e32 v26, v91, v27
	v_sub_f32_e32 v27, v92, v70
	v_fma_f32 v20, v66, 2.0, -v22
	v_fma_f32 v21, v67, 2.0, -v23
	;; [unrolled: 1-line block ×12, first 2 shown]
	ds_write2_b64 v81, v[22:23], v[42:43] offset0:156 offset1:182
	ds_write2_b64 v81, v[38:39], v[34:35] offset0:208 offset1:234
	ds_write2_b64 v81, v[20:21], v[40:41] offset1:26
	ds_write2_b64 v81, v[36:37], v[32:33] offset0:52 offset1:78
	ds_write_b64 v81, v[28:29] offset:832
	ds_write_b64 v65, v[30:31] offset:2080
	;; [unrolled: 1-line block ×4, first 2 shown]
	s_waitcnt lgkmcnt(0)
	s_barrier
	buffer_gl0_inv
	s_and_saveexec_b32 s1, vcc_lo
	s_cbranch_execz .LBB0_9
; %bb.8:
	s_add_u32 s2, s14, 0x9c0
	s_addc_u32 s3, s15, 0
	v_add_co_u32 v66, s0, s2, v76
	v_add_co_ci_u32_e64 v67, null, s3, 0, s0
	v_or_b32_e32 v68, 0x900, v76
	v_add_co_u32 v66, s0, 0x800, v66
	v_add_co_ci_u32_e64 v67, s0, 0, v67, s0
	s_clause 0xa
	global_load_dwordx2 v[105:106], v76, s[2:3]
	global_load_dwordx2 v[107:108], v76, s[2:3] offset:192
	global_load_dwordx2 v[109:110], v76, s[2:3] offset:384
	;; [unrolled: 1-line block ×10, first 2 shown]
	v_add_nc_u32_e32 v135, 0x400, v81
	s_clause 0x1
	global_load_dwordx2 v[127:128], v[66:67], off offset:64
	global_load_dwordx2 v[129:130], v68, s[2:3]
	ds_read2_b64 v[66:69], v81 offset1:24
	ds_read2_b64 v[85:88], v81 offset0:48 offset1:72
	ds_read2_b64 v[89:92], v81 offset0:96 offset1:120
	;; [unrolled: 1-line block ×4, first 2 shown]
	ds_read_b64 v[131:132], v81 offset:2304
	ds_read2_b64 v[101:104], v135 offset0:112 offset1:136
	s_waitcnt vmcnt(12) lgkmcnt(6)
	v_mul_f32_e32 v133, v67, v106
	v_mul_f32_e32 v134, v66, v106
	s_waitcnt vmcnt(11)
	v_mul_f32_e32 v136, v69, v108
	s_waitcnt vmcnt(10) lgkmcnt(5)
	v_mul_f32_e32 v70, v85, v110
	v_mul_f32_e32 v106, v68, v108
	;; [unrolled: 1-line block ×3, first 2 shown]
	s_waitcnt vmcnt(9)
	v_mul_f32_e32 v138, v88, v112
	v_mul_f32_e32 v108, v87, v112
	s_waitcnt vmcnt(8) lgkmcnt(4)
	v_mul_f32_e32 v139, v90, v114
	v_mul_f32_e32 v110, v89, v114
	s_waitcnt vmcnt(7)
	v_mul_f32_e32 v140, v92, v116
	v_mul_f32_e32 v112, v91, v116
	s_waitcnt vmcnt(6) lgkmcnt(3)
	v_mul_f32_e32 v141, v94, v118
	v_mul_f32_e32 v114, v93, v118
	;; [unrolled: 6-line block ×4, first 2 shown]
	v_fma_f32 v133, v66, v105, -v133
	v_fmac_f32_e32 v134, v67, v105
	s_waitcnt vmcnt(1)
	v_mul_f32_e32 v66, v104, v128
	v_mul_f32_e32 v67, v103, v128
	v_fma_f32 v105, v68, v107, -v136
	v_fmac_f32_e32 v70, v86, v109
	s_waitcnt vmcnt(0)
	v_mul_f32_e32 v68, v132, v130
	v_mul_f32_e32 v86, v131, v130
	v_fmac_f32_e32 v106, v69, v107
	v_fma_f32 v69, v85, v109, -v137
	v_fma_f32 v107, v87, v111, -v138
	v_fmac_f32_e32 v108, v88, v111
	v_fma_f32 v109, v89, v113, -v139
	v_fmac_f32_e32 v110, v90, v113
	;; [unrolled: 2-line block ×10, first 2 shown]
	ds_write2_b64 v81, v[133:134], v[105:106] offset1:24
	ds_write2_b64 v81, v[69:70], v[107:108] offset0:48 offset1:72
	ds_write2_b64 v81, v[109:110], v[111:112] offset0:96 offset1:120
	;; [unrolled: 1-line block ×5, first 2 shown]
	ds_write_b64 v81, v[85:86] offset:2304
.LBB0_9:
	s_or_b32 exec_lo, exec_lo, s1
	s_waitcnt lgkmcnt(0)
	s_barrier
	buffer_gl0_inv
	s_and_saveexec_b32 s0, vcc_lo
	s_cbranch_execz .LBB0_11
; %bb.10:
	v_add_nc_u32_e32 v24, 0x400, v81
	ds_read2_b64 v[20:23], v81 offset1:24
	ds_read2_b64 v[40:43], v81 offset0:48 offset1:72
	ds_read2_b64 v[36:39], v81 offset0:96 offset1:120
	;; [unrolled: 1-line block ×5, first 2 shown]
	ds_read_b64 v[45:46], v81 offset:2304
.LBB0_11:
	s_or_b32 exec_lo, exec_lo, s0
	v_add_nc_u32_e32 v86, 0x340, v65
	v_add_nc_u32_e32 v85, 0x410, v65
	s_waitcnt lgkmcnt(0)
	s_barrier
	buffer_gl0_inv
	s_and_saveexec_b32 s0, vcc_lo
	s_cbranch_execz .LBB0_13
; %bb.12:
	v_sub_f32_e32 v91, v22, v45
	v_add_f32_e32 v107, v46, v23
	v_sub_f32_e32 v89, v40, v26
	v_add_f32_e32 v109, v27, v41
	v_sub_f32_e32 v87, v42, v24
	v_mul_f32_e32 v103, 0xbf7e222b, v91
	v_add_f32_e32 v110, v25, v43
	v_mul_f32_e32 v104, 0xbe750f2a, v89
	v_sub_f32_e32 v88, v36, v30
	v_mul_f32_e32 v105, 0x3f6f5d39, v87
	v_fmamk_f32 v65, v107, 0x3df6dbef, v103
	v_sub_f32_e32 v113, v23, v46
	v_fmamk_f32 v66, v109, 0xbf788fa5, v104
	v_add_f32_e32 v111, v31, v37
	v_sub_f32_e32 v90, v38, v28
	v_add_f32_e32 v65, v21, v65
	v_add_f32_e32 v93, v45, v22
	v_mul_f32_e32 v106, 0x3eedf032, v88
	v_fmamk_f32 v67, v110, 0xbeb58ec6, v105
	v_sub_f32_e32 v114, v41, v27
	v_add_f32_e32 v65, v66, v65
	v_mul_f32_e32 v115, 0xbf7e222b, v113
	v_add_f32_e32 v112, v29, v39
	v_mul_f32_e32 v108, 0xbf52af12, v90
	v_fmamk_f32 v66, v111, 0x3f62ad3f, v106
	v_add_f32_e32 v65, v67, v65
	v_add_f32_e32 v94, v26, v40
	v_mul_f32_e32 v116, 0xbe750f2a, v114
	v_fma_f32 v68, 0x3df6dbef, v93, -v115
	v_sub_f32_e32 v117, v43, v25
	v_fmamk_f32 v67, v112, 0x3f116cb1, v108
	v_add_f32_e32 v65, v66, v65
	v_sub_f32_e32 v92, v32, v34
	v_fma_f32 v66, 0xbf788fa5, v94, -v116
	v_add_f32_e32 v68, v20, v68
	v_add_f32_e32 v95, v24, v42
	v_mul_f32_e32 v118, 0x3f6f5d39, v117
	v_sub_f32_e32 v120, v37, v31
	v_add_f32_e32 v65, v67, v65
	v_mul_f32_e32 v119, 0xbf29c268, v92
	v_add_f32_e32 v121, v35, v33
	v_add_f32_e32 v66, v66, v68
	v_fma_f32 v67, 0xbeb58ec6, v95, -v118
	v_add_f32_e32 v96, v30, v36
	v_mul_f32_e32 v122, 0x3eedf032, v120
	v_sub_f32_e32 v123, v39, v29
	v_fmamk_f32 v68, v121, 0xbf3f9e67, v119
	v_add_f32_e32 v67, v67, v66
	v_mul_f32_e32 v101, 0xbf6f5d39, v91
	v_fma_f32 v69, 0x3f62ad3f, v96, -v122
	v_add_f32_e32 v98, v28, v38
	v_mul_f32_e32 v124, 0xbf52af12, v123
	v_sub_f32_e32 v125, v33, v35
	v_add_f32_e32 v66, v68, v65
	v_add_f32_e32 v65, v69, v67
	v_fmamk_f32 v67, v107, 0xbeb58ec6, v101
	v_mul_f32_e32 v102, 0x3f29c268, v89
	v_fma_f32 v68, 0x3f116cb1, v98, -v124
	v_add_f32_e32 v97, v34, v32
	v_mul_f32_e32 v126, 0xbf29c268, v125
	v_add_f32_e32 v67, v21, v67
	v_fmamk_f32 v69, v109, 0xbf3f9e67, v102
	v_mul_f32_e32 v127, 0x3eedf032, v87
	v_add_f32_e32 v65, v68, v65
	v_fma_f32 v68, 0xbf3f9e67, v97, -v126
	v_mul_f32_e32 v128, 0xbf6f5d39, v113
	v_add_f32_e32 v67, v69, v67
	v_fmamk_f32 v69, v110, 0x3f62ad3f, v127
	v_mul_f32_e32 v129, 0xbf7e222b, v88
	v_add_f32_e32 v65, v68, v65
	v_fma_f32 v68, 0xbeb58ec6, v93, -v128
	;; [unrolled: 6-line block ×13, first 2 shown]
	v_mul_f32_e32 v153, 0xbe750f2a, v113
	v_add_f32_e32 v100, v151, v100
	v_fmamk_f32 v151, v87, 0x3f29c268, v152
	v_mul_f32_e32 v154, 0x3f116cb1, v111
	v_add_f32_e32 v69, v143, v69
	v_fmamk_f32 v143, v93, 0xbf788fa5, v153
	;; [unrolled: 3-line block ×7, first 2 shown]
	v_fma_f32 v99, 0xbf3f9e67, v107, -v99
	v_add_f32_e32 v143, v157, v143
	v_fmamk_f32 v157, v96, 0x3f116cb1, v160
	v_mul_f32_e32 v161, 0xbf6f5d39, v123
	v_add_f32_e32 v100, v151, v100
	v_add_f32_e32 v99, v21, v99
	v_fma_f32 v136, 0x3df6dbef, v109, -v136
	v_add_f32_e32 v143, v157, v143
	v_fmamk_f32 v151, v98, 0xbeb58ec6, v161
	v_mul_f32_e32 v157, 0x3f7e222b, v125
	v_fmac_f32_e32 v139, 0xbf3f9e67, v93
	v_add_f32_e32 v99, v136, v99
	v_fma_f32 v136, 0x3f116cb1, v110, -v138
	v_add_f32_e32 v138, v151, v143
	v_fmamk_f32 v143, v97, 0x3df6dbef, v157
	v_add_f32_e32 v139, v20, v139
	v_fmac_f32_e32 v142, 0x3df6dbef, v94
	v_fma_f32 v101, 0xbeb58ec6, v107, -v101
	v_add_f32_e32 v136, v136, v99
	v_add_f32_e32 v99, v143, v138
	v_fmac_f32_e32 v144, 0x3f116cb1, v95
	v_add_f32_e32 v138, v142, v139
	v_add_f32_e32 v101, v21, v101
	v_fma_f32 v102, 0xbf3f9e67, v109, -v102
	v_fmac_f32_e32 v146, 0xbf788fa5, v96
	v_fma_f32 v127, 0x3f62ad3f, v110, -v127
	v_add_f32_e32 v138, v144, v138
	v_fmac_f32_e32 v128, 0xbeb58ec6, v93
	v_add_f32_e32 v101, v102, v101
	v_fmac_f32_e32 v148, 0x3f62ad3f, v98
	v_fmac_f32_e32 v130, 0xbf3f9e67, v94
	v_add_f32_e32 v138, v146, v138
	v_add_f32_e32 v128, v20, v128
	;; [unrolled: 1-line block ×3, first 2 shown]
	v_fma_f32 v127, 0x3df6dbef, v111, -v129
	v_fma_f32 v103, 0x3df6dbef, v107, -v103
	v_add_f32_e32 v23, v23, v21
	v_add_f32_e32 v129, v148, v138
	v_fmac_f32_e32 v150, 0xbeb58ec6, v97
	v_add_f32_e32 v127, v127, v101
	v_fma_f32 v131, 0xbf788fa5, v112, -v131
	v_add_f32_e32 v128, v130, v128
	v_fmac_f32_e32 v132, 0x3f62ad3f, v95
	v_add_f32_e32 v103, v21, v103
	v_fma_f32 v130, 0xbf788fa5, v109, -v104
	v_add_f32_e32 v23, v41, v23
	v_add_f32_e32 v22, v22, v20
	;; [unrolled: 1-line block ×4, first 2 shown]
	v_fma_f32 v129, 0x3f116cb1, v121, -v133
	v_add_f32_e32 v128, v132, v128
	v_fmac_f32_e32 v134, 0x3df6dbef, v96
	v_fmac_f32_e32 v115, 0x3df6dbef, v93
	v_add_f32_e32 v103, v130, v103
	v_fma_f32 v105, 0xbeb58ec6, v110, -v105
	v_add_f32_e32 v23, v43, v23
	v_add_f32_e32 v22, v40, v22
	;; [unrolled: 1-line block ×4, first 2 shown]
	v_fmac_f32_e32 v135, 0xbf788fa5, v98
	v_add_f32_e32 v115, v20, v115
	v_fmac_f32_e32 v116, 0xbf788fa5, v94
	v_add_f32_e32 v103, v105, v103
	v_fma_f32 v105, 0x3f62ad3f, v111, -v106
	v_mul_f32_e32 v40, 0xbeedf032, v113
	v_add_f32_e32 v23, v37, v23
	v_add_f32_e32 v22, v42, v22
	;; [unrolled: 1-line block ×3, first 2 shown]
	v_fmac_f32_e32 v137, 0x3f116cb1, v97
	v_add_f32_e32 v115, v116, v115
	v_fmac_f32_e32 v118, 0xbeb58ec6, v95
	v_add_f32_e32 v105, v105, v103
	v_fma_f32 v108, 0x3f116cb1, v112, -v108
	v_mul_f32_e32 v116, 0x3f116cb1, v107
	v_fmamk_f32 v37, v93, 0x3f62ad3f, v40
	v_mul_f32_e32 v42, 0xbf52af12, v114
	v_add_f32_e32 v23, v39, v23
	v_add_f32_e32 v22, v36, v22
	;; [unrolled: 1-line block ×4, first 2 shown]
	v_fmac_f32_e32 v122, 0x3f62ad3f, v96
	v_add_f32_e32 v105, v108, v105
	v_fma_f32 v108, 0xbf3f9e67, v121, -v119
	v_fmamk_f32 v115, v91, 0x3f52af12, v116
	v_mul_f32_e32 v118, 0xbeb58ec6, v109
	v_add_f32_e32 v36, v20, v37
	v_fmamk_f32 v37, v94, 0x3f116cb1, v42
	v_mul_f32_e32 v39, 0xbf7e222b, v117
	v_add_f32_e32 v23, v33, v23
	v_add_f32_e32 v22, v38, v22
	;; [unrolled: 1-line block ×3, first 2 shown]
	v_fmac_f32_e32 v124, 0x3f116cb1, v98
	v_add_f32_e32 v106, v108, v105
	v_add_f32_e32 v105, v21, v115
	v_fmamk_f32 v108, v89, 0x3f6f5d39, v118
	v_mul_f32_e32 v115, 0xbf788fa5, v110
	v_add_f32_e32 v36, v37, v36
	v_fmamk_f32 v37, v95, 0x3df6dbef, v39
	v_add_f32_e32 v23, v35, v23
	v_add_f32_e32 v22, v32, v22
	v_mul_f32_e32 v32, 0xbf6f5d39, v120
	v_add_f32_e32 v119, v124, v119
	v_fmac_f32_e32 v126, 0xbf3f9e67, v97
	v_mul_f32_e32 v122, 0xbf52af12, v113
	v_add_f32_e32 v108, v108, v105
	v_fmamk_f32 v124, v87, 0x3e750f2a, v115
	v_mul_f32_e32 v127, 0xbf3f9e67, v111
	v_add_f32_e32 v36, v37, v36
	v_add_f32_e32 v29, v29, v23
	;; [unrolled: 1-line block ×3, first 2 shown]
	v_fmamk_f32 v34, v96, 0xbeb58ec6, v32
	v_mul_f32_e32 v37, 0xbf29c268, v123
	v_add_f32_e32 v105, v126, v119
	v_fmamk_f32 v119, v93, 0x3f116cb1, v122
	v_mul_f32_e32 v126, 0xbf6f5d39, v114
	v_add_f32_e32 v108, v124, v108
	;; [unrolled: 3-line block ×3, first 2 shown]
	v_add_f32_e32 v22, v28, v22
	v_add_f32_e32 v28, v34, v36
	v_fmamk_f32 v31, v98, 0xbf3f9e67, v37
	v_mul_f32_e32 v34, 0xbe750f2a, v125
	v_add_f32_e32 v119, v20, v119
	v_fmamk_f32 v129, v94, 0xbeb58ec6, v126
	v_mul_f32_e32 v130, 0xbe750f2a, v117
	;; [unrolled: 3-line block ×3, first 2 shown]
	v_add_f32_e32 v25, v25, v29
	v_add_f32_e32 v22, v30, v22
	v_fmac_f32_e32 v147, 0xbe750f2a, v91
	v_add_f32_e32 v28, v31, v28
	v_fmamk_f32 v29, v97, 0xbf788fa5, v34
	v_add_f32_e32 v119, v129, v119
	v_fmamk_f32 v129, v95, 0xbf788fa5, v130
	v_mul_f32_e32 v132, 0x3f29c268, v120
	v_add_f32_e32 v108, v124, v108
	v_fmamk_f32 v124, v92, 0xbeedf032, v131
	v_mul_f32_e32 v133, 0x3f62ad3f, v107
	v_add_f32_e32 v25, v27, v25
	v_add_f32_e32 v24, v24, v22
	;; [unrolled: 1-line block ×3, first 2 shown]
	v_fmac_f32_e32 v149, 0x3eedf032, v89
	v_add_f32_e32 v22, v29, v28
	v_fma_f32 v28, 0xbf788fa5, v93, -v153
	v_add_f32_e32 v107, v129, v119
	v_fmamk_f32 v119, v96, 0xbf3f9e67, v132
	v_mul_f32_e32 v129, 0x3f7e222b, v123
	v_add_f32_e32 v108, v124, v108
	v_fmamk_f32 v124, v91, 0x3eedf032, v133
	v_mul_f32_e32 v109, 0x3f116cb1, v109
	v_add_f32_e32 v24, v26, v24
	v_add_f32_e32 v26, v149, v27
	v_fmac_f32_e32 v152, 0xbf29c268, v87
	v_add_f32_e32 v27, v20, v28
	v_fma_f32 v28, 0x3f62ad3f, v94, -v155
	v_fmac_f32_e32 v116, 0xbf52af12, v91
	v_add_f32_e32 v107, v119, v107
	v_fmamk_f32 v119, v98, 0x3df6dbef, v129
	v_mul_f32_e32 v134, 0x3eedf032, v125
	v_add_f32_e32 v124, v21, v124
	v_fmamk_f32 v135, v89, 0x3f52af12, v109
	v_mul_f32_e32 v110, 0x3df6dbef, v110
	v_add_f32_e32 v26, v152, v26
	v_fmac_f32_e32 v154, 0x3f52af12, v88
	v_add_f32_e32 v27, v28, v27
	v_fma_f32 v28, 0xbf3f9e67, v95, -v158
	v_add_f32_e32 v29, v21, v116
	v_fmac_f32_e32 v118, 0xbf6f5d39, v89
	v_fma_f32 v141, 0xbf788fa5, v111, -v141
	v_add_f32_e32 v107, v119, v107
	v_fmamk_f32 v119, v97, 0x3f62ad3f, v134
	v_add_f32_e32 v124, v135, v124
	v_fmamk_f32 v135, v87, 0x3f7e222b, v110
	v_mul_f32_e32 v111, 0xbeb58ec6, v111
	v_add_f32_e32 v26, v154, v26
	v_fmac_f32_e32 v156, 0xbf6f5d39, v90
	v_add_f32_e32 v27, v28, v27
	v_fma_f32 v28, 0x3f116cb1, v96, -v160
	v_add_f32_e32 v29, v118, v29
	v_fmac_f32_e32 v115, 0xbe750f2a, v87
	v_fma_f32 v139, 0x3f62ad3f, v112, -v140
	v_add_f32_e32 v107, v119, v107
	v_add_f32_e32 v41, v135, v124
	v_fmamk_f32 v119, v88, 0x3f6f5d39, v111
	v_mul_f32_e32 v112, 0xbf3f9e67, v112
	v_add_f32_e32 v26, v156, v26
	v_fmac_f32_e32 v159, 0x3f7e222b, v92
	v_add_f32_e32 v28, v28, v27
	v_fma_f32 v30, 0xbeb58ec6, v98, -v161
	v_add_f32_e32 v29, v115, v29
	v_fmac_f32_e32 v127, 0x3f29c268, v88
	v_add_f32_e32 v41, v119, v41
	v_fmamk_f32 v43, v90, 0x3f29c268, v112
	v_mul_f32_e32 v33, 0xbf788fa5, v121
	v_add_f32_e32 v27, v159, v26
	v_fma_f32 v26, 0x3f116cb1, v93, -v122
	v_add_f32_e32 v28, v30, v28
	v_fma_f32 v30, 0x3df6dbef, v97, -v157
	v_add_f32_e32 v29, v127, v29
	v_fmac_f32_e32 v128, 0x3f7e222b, v90
	v_add_f32_e32 v41, v43, v41
	v_fmamk_f32 v35, v92, 0x3e750f2a, v33
	v_add_f32_e32 v31, v20, v26
	v_add_f32_e32 v26, v30, v28
	v_fmac_f32_e32 v133, 0xbeedf032, v91
	v_add_f32_e32 v28, v128, v29
	v_fma_f32 v29, 0x3f62ad3f, v93, -v40
	v_add_f32_e32 v23, v35, v41
	v_fma_f32 v35, 0xbeb58ec6, v94, -v126
	v_add_f32_e32 v21, v21, v133
	v_fmac_f32_e32 v109, 0xbf52af12, v89
	v_add_f32_e32 v20, v20, v29
	v_fma_f32 v29, 0x3f116cb1, v94, -v42
	v_add_f32_e32 v30, v35, v31
	v_fma_f32 v31, 0xbf788fa5, v95, -v130
	;; [unrolled: 6-line block ×3, first 2 shown]
	v_add_f32_e32 v21, v110, v21
	v_fmac_f32_e32 v111, 0xbf6f5d39, v88
	v_add_f32_e32 v20, v29, v20
	v_fma_f32 v29, 0xbeb58ec6, v96, -v32
	v_add_f32_e32 v136, v141, v136
	v_add_f32_e32 v30, v31, v30
	v_fma_f32 v31, 0x3df6dbef, v98, -v129
	v_add_f32_e32 v21, v111, v21
	v_fmac_f32_e32 v112, 0xbf29c268, v90
	v_add_f32_e32 v20, v29, v20
	v_fma_f32 v29, 0xbf3f9e67, v98, -v37
	v_and_b32_e32 v32, 0xffff, v78
	v_add_f32_e32 v136, v139, v136
	v_fma_f32 v139, 0xbeb58ec6, v121, -v145
	v_add_f32_e32 v25, v46, v25
	v_add_f32_e32 v24, v45, v24
	v_fmac_f32_e32 v131, 0x3eedf032, v92
	v_add_f32_e32 v30, v31, v30
	v_fma_f32 v31, 0x3f62ad3f, v97, -v134
	v_add_f32_e32 v35, v112, v21
	v_fmac_f32_e32 v33, 0xbe750f2a, v92
	v_add_f32_e32 v36, v29, v20
	v_fma_f32 v34, 0xbf788fa5, v97, -v34
	v_lshl_add_u32 v32, v32, 3, v77
	v_add_f32_e32 v102, v139, v136
	v_add_f32_e32 v21, v131, v28
	;; [unrolled: 1-line block ×5, first 2 shown]
	ds_write2_b64 v32, v[24:25], v[22:23] offset1:1
	ds_write2_b64 v32, v[107:108], v[105:106] offset0:2 offset1:3
	ds_write2_b64 v32, v[103:104], v[101:102] offset0:4 offset1:5
	ds_write2_b64 v32, v[99:100], v[26:27] offset0:6 offset1:7
	ds_write2_b64 v32, v[69:70], v[67:68] offset0:8 offset1:9
	ds_write2_b64 v32, v[65:66], v[20:21] offset0:10 offset1:11
	ds_write_b64 v32, v[28:29] offset:96
.LBB0_13:
	s_or_b32 exec_lo, exec_lo, s0
	v_add_nc_u32_e32 v45, 0x800, v80
	s_waitcnt lgkmcnt(0)
	s_barrier
	buffer_gl0_inv
	ds_read2_b64 v[20:23], v80 offset0:52 offset1:78
	ds_read2_b64 v[24:27], v80 offset0:156 offset1:182
	;; [unrolled: 1-line block ×5, first 2 shown]
	ds_read2_b64 v[40:43], v80 offset1:26
	s_waitcnt lgkmcnt(0)
	s_barrier
	buffer_gl0_inv
	v_mul_f32_e32 v46, v5, v23
	v_mul_f32_e32 v5, v5, v22
	;; [unrolled: 1-line block ×8, first 2 shown]
	v_fmac_f32_e32 v46, v4, v22
	v_fma_f32 v4, v4, v23, -v5
	v_fma_f32 v5, v6, v25, -v7
	v_mul_f32_e32 v7, v50, v37
	v_mul_f32_e32 v9, v9, v32
	;; [unrolled: 1-line block ×3, first 2 shown]
	v_fmac_f32_e32 v65, v6, v24
	v_fma_f32 v6, v51, v31, -v52
	v_fmac_f32_e32 v67, v8, v32
	v_fmac_f32_e32 v68, v10, v26
	;; [unrolled: 1-line block ×4, first 2 shown]
	v_fma_f32 v8, v8, v33, -v9
	v_fma_f32 v9, v10, v27, -v11
	v_mul_f32_e32 v11, v1, v35
	v_mul_f32_e32 v1, v1, v34
	;; [unrolled: 1-line block ×4, first 2 shown]
	v_sub_f32_e32 v27, v41, v5
	v_sub_f32_e32 v5, v4, v6
	;; [unrolled: 1-line block ×4, first 2 shown]
	v_mul_f32_e32 v10, v50, v36
	v_fma_f32 v23, v0, v35, -v1
	v_fmac_f32_e32 v22, v2, v28
	v_fma_f32 v24, v2, v29, -v3
	v_sub_f32_e32 v25, v40, v65
	v_sub_f32_e32 v3, v46, v66
	v_mul_f32_e32 v26, v48, v39
	v_mul_f32_e32 v1, v48, v38
	v_fma_f32 v28, v41, 2.0, -v27
	v_fma_f32 v4, v4, 2.0, -v5
	;; [unrolled: 1-line block ×4, first 2 shown]
	v_fma_f32 v10, v49, v37, -v10
	v_fmac_f32_e32 v11, v0, v34
	v_fmac_f32_e32 v26, v47, v38
	v_fma_f32 v29, v47, v39, -v1
	v_sub_f32_e32 v1, v28, v4
	v_add_f32_e32 v4, v25, v5
	v_sub_f32_e32 v5, v27, v3
	v_sub_f32_e32 v6, v33, v6
	;; [unrolled: 1-line block ×5, first 2 shown]
	v_fma_f32 v9, v27, 2.0, -v5
	v_fma_f32 v10, v33, 2.0, -v6
	v_sub_f32_e32 v33, v20, v22
	v_sub_f32_e32 v27, v11, v26
	v_sub_f32_e32 v26, v23, v29
	v_fma_f32 v2, v40, 2.0, -v25
	v_fma_f32 v0, v46, 2.0, -v3
	;; [unrolled: 1-line block ×10, first 2 shown]
	v_sub_f32_e32 v0, v2, v0
	v_sub_f32_e32 v7, v35, v7
	v_add_f32_e32 v22, v30, v34
	v_sub_f32_e32 v23, v32, v31
	v_sub_f32_e32 v24, v28, v21
	;; [unrolled: 1-line block ×3, first 2 shown]
	v_add_f32_e32 v26, v33, v26
	v_sub_f32_e32 v27, v36, v27
	v_fma_f32 v2, v2, 2.0, -v0
	v_fma_f32 v11, v35, 2.0, -v7
	;; [unrolled: 1-line block ×8, first 2 shown]
	ds_write2_b64 v84, v[2:3], v[8:9] offset1:13
	ds_write2_b64 v84, v[0:1], v[4:5] offset0:26 offset1:39
	ds_write2_b64 v83, v[10:11], v[20:21] offset1:13
	ds_write2_b64 v83, v[6:7], v[22:23] offset0:26 offset1:39
	;; [unrolled: 2-line block ×3, first 2 shown]
	s_waitcnt lgkmcnt(0)
	s_barrier
	buffer_gl0_inv
	ds_read2_b64 v[0:3], v80 offset0:104 offset1:130
	ds_read2_b64 v[4:7], v80 offset0:208 offset1:234
	;; [unrolled: 1-line block ×4, first 2 shown]
	ds_read2_b64 v[24:27], v80 offset1:26
	ds_read2_b64 v[28:31], v80 offset0:52 offset1:78
	s_waitcnt lgkmcnt(0)
	s_barrier
	buffer_gl0_inv
	v_mul_f32_e32 v32, v17, v1
	v_mul_f32_e32 v33, v17, v0
	;; [unrolled: 1-line block ×5, first 2 shown]
	v_fmac_f32_e32 v32, v16, v0
	v_mul_f32_e32 v0, v19, v4
	v_fma_f32 v1, v16, v1, -v33
	v_mul_f32_e32 v33, v13, v3
	v_fmac_f32_e32 v34, v18, v4
	v_mul_f32_e32 v4, v13, v2
	v_fma_f32 v5, v18, v5, -v0
	v_mul_f32_e32 v0, v15, v6
	v_fmac_f32_e32 v33, v12, v2
	v_mul_f32_e32 v2, v17, v8
	v_mul_f32_e32 v17, v19, v21
	v_fmac_f32_e32 v37, v16, v8
	v_fma_f32 v7, v14, v7, -v0
	v_mul_f32_e32 v0, v19, v20
	v_fma_f32 v16, v16, v9, -v2
	v_mul_f32_e32 v2, v13, v10
	v_fma_f32 v36, v12, v3, -v4
	v_mul_f32_e32 v19, v13, v11
	v_fmac_f32_e32 v17, v18, v20
	v_fma_f32 v13, v18, v21, -v0
	v_mul_f32_e32 v0, v15, v22
	v_fma_f32 v20, v12, v11, -v2
	v_add_f32_e32 v2, v32, v34
	v_add_f32_e32 v3, v24, v32
	;; [unrolled: 1-line block ×3, first 2 shown]
	v_fmac_f32_e32 v35, v14, v6
	v_fma_f32 v21, v14, v23, -v0
	v_fma_f32 v0, -0.5, v2, v24
	v_sub_f32_e32 v6, v1, v5
	v_add_f32_e32 v2, v3, v34
	v_add_f32_e32 v3, v25, v1
	v_fma_f32 v1, -0.5, v4, v25
	v_sub_f32_e32 v8, v32, v34
	v_fmamk_f32 v4, v6, 0xbf5db3d7, v0
	v_fmac_f32_e32 v0, 0x3f5db3d7, v6
	v_add_f32_e32 v3, v3, v5
	v_add_f32_e32 v6, v33, v35
	v_fmamk_f32 v5, v8, 0x3f5db3d7, v1
	v_add_f32_e32 v9, v26, v33
	v_fmac_f32_e32 v1, 0xbf5db3d7, v8
	v_add_f32_e32 v8, v36, v7
	v_fmac_f32_e32 v19, v12, v10
	v_fma_f32 v26, -0.5, v6, v26
	v_sub_f32_e32 v10, v36, v7
	v_add_f32_e32 v6, v9, v35
	v_add_f32_e32 v9, v27, v36
	v_fmac_f32_e32 v27, -0.5, v8
	v_sub_f32_e32 v11, v33, v35
	v_mul_f32_e32 v18, v15, v23
	v_fmamk_f32 v8, v10, 0xbf5db3d7, v26
	v_fmac_f32_e32 v26, 0x3f5db3d7, v10
	v_add_f32_e32 v7, v9, v7
	v_add_f32_e32 v10, v37, v17
	v_fmamk_f32 v9, v11, 0x3f5db3d7, v27
	v_add_f32_e32 v12, v28, v37
	v_fmac_f32_e32 v27, 0xbf5db3d7, v11
	v_add_f32_e32 v11, v16, v13
	v_fmac_f32_e32 v18, v14, v22
	v_fma_f32 v10, -0.5, v10, v28
	v_sub_f32_e32 v15, v16, v13
	v_add_f32_e32 v12, v12, v17
	v_add_f32_e32 v16, v29, v16
	v_fma_f32 v11, -0.5, v11, v29
	v_sub_f32_e32 v17, v37, v17
	v_fmamk_f32 v14, v15, 0xbf5db3d7, v10
	v_fmac_f32_e32 v10, 0x3f5db3d7, v15
	v_add_f32_e32 v13, v16, v13
	v_add_f32_e32 v16, v19, v18
	v_fmamk_f32 v15, v17, 0x3f5db3d7, v11
	v_fmac_f32_e32 v11, 0xbf5db3d7, v17
	v_add_f32_e32 v17, v20, v21
	v_add_f32_e32 v22, v30, v19
	v_sub_f32_e32 v23, v20, v21
	v_add_f32_e32 v20, v31, v20
	v_fma_f32 v30, -0.5, v16, v30
	v_fmac_f32_e32 v31, -0.5, v17
	v_sub_f32_e32 v24, v19, v18
	v_add_f32_e32 v16, v22, v18
	v_add_f32_e32 v17, v20, v21
	v_fmamk_f32 v18, v23, 0xbf5db3d7, v30
	v_fmac_f32_e32 v30, 0x3f5db3d7, v23
	v_fmamk_f32 v19, v24, 0x3f5db3d7, v31
	v_fmac_f32_e32 v31, 0xbf5db3d7, v24
	ds_write2_b64 v80, v[2:3], v[6:7] offset1:26
	ds_write2_b64 v80, v[4:5], v[8:9] offset0:52 offset1:78
	ds_write2_b64 v80, v[0:1], v[26:27] offset0:104 offset1:130
	;; [unrolled: 1-line block ×5, first 2 shown]
	s_waitcnt lgkmcnt(0)
	s_barrier
	buffer_gl0_inv
	ds_read2_b64 v[0:3], v80 offset0:156 offset1:182
	ds_read2_b64 v[4:7], v80 offset0:208 offset1:234
	;; [unrolled: 1-line block ×3, first 2 shown]
	ds_read2_b64 v[12:15], v80 offset1:26
	ds_read2_b64 v[16:19], v80 offset0:52 offset1:78
	ds_read2_b64 v[20:23], v80 offset0:104 offset1:130
	s_waitcnt lgkmcnt(5)
	v_mul_f32_e32 v24, v56, v1
	v_mul_f32_e32 v25, v56, v0
	v_mul_f32_e32 v26, v58, v3
	v_mul_f32_e32 v27, v58, v2
	s_waitcnt lgkmcnt(4)
	v_mul_f32_e32 v28, v64, v7
	v_fmac_f32_e32 v24, v55, v0
	v_fma_f32 v1, v55, v1, -v25
	v_fmac_f32_e32 v26, v57, v2
	v_mul_f32_e32 v25, v54, v5
	v_mul_f32_e32 v0, v54, v4
	;; [unrolled: 1-line block ×3, first 2 shown]
	s_waitcnt lgkmcnt(3)
	v_mul_f32_e32 v29, v60, v9
	v_fma_f32 v27, v57, v3, -v27
	v_fmac_f32_e32 v25, v53, v4
	v_fma_f32 v30, v53, v5, -v0
	v_fma_f32 v31, v63, v7, -v2
	v_mul_f32_e32 v2, v60, v8
	v_mul_f32_e32 v32, v62, v11
	;; [unrolled: 1-line block ×3, first 2 shown]
	v_fmac_f32_e32 v28, v63, v6
	v_fmac_f32_e32 v29, v59, v8
	s_waitcnt lgkmcnt(2)
	v_sub_f32_e32 v0, v12, v24
	v_fma_f32 v24, v59, v9, -v2
	v_sub_f32_e32 v1, v13, v1
	s_waitcnt lgkmcnt(1)
	v_sub_f32_e32 v6, v16, v25
	v_sub_f32_e32 v7, v17, v30
	v_fmac_f32_e32 v32, v61, v10
	v_fma_f32 v33, v61, v11, -v3
	v_sub_f32_e32 v4, v14, v26
	v_sub_f32_e32 v5, v15, v27
	;; [unrolled: 1-line block ×4, first 2 shown]
	v_fma_f32 v2, v12, 2.0, -v0
	v_fma_f32 v3, v13, 2.0, -v1
	;; [unrolled: 1-line block ×4, first 2 shown]
	s_waitcnt lgkmcnt(0)
	v_sub_f32_e32 v16, v20, v29
	v_sub_f32_e32 v17, v21, v24
	v_fma_f32 v8, v14, 2.0, -v4
	v_fma_f32 v9, v15, 2.0, -v5
	v_sub_f32_e32 v24, v22, v32
	v_sub_f32_e32 v25, v23, v33
	v_fma_f32 v14, v18, 2.0, -v10
	v_fma_f32 v15, v19, 2.0, -v11
	;; [unrolled: 1-line block ×6, first 2 shown]
	ds_write2_b64 v81, v[2:3], v[8:9] offset1:26
	ds_write2_b64 v81, v[0:1], v[4:5] offset0:156 offset1:182
	ds_write2_b64 v81, v[12:13], v[14:15] offset0:52 offset1:78
	;; [unrolled: 1-line block ×3, first 2 shown]
	ds_write_b64 v81, v[18:19] offset:832
	ds_write_b64 v86, v[16:17] offset:1248
	;; [unrolled: 1-line block ×4, first 2 shown]
	s_waitcnt lgkmcnt(0)
	s_barrier
	buffer_gl0_inv
	s_and_b32 exec_lo, exec_lo, vcc_lo
	s_cbranch_execz .LBB0_15
; %bb.14:
	s_clause 0xa
	global_load_dwordx2 v[24:25], v76, s[14:15]
	global_load_dwordx2 v[26:27], v76, s[14:15] offset:192
	global_load_dwordx2 v[28:29], v76, s[14:15] offset:384
	;; [unrolled: 1-line block ×10, first 2 shown]
	v_add_co_u32 v0, s0, s14, v76
	v_add_co_ci_u32_e64 v1, null, s15, 0, s0
	v_lshlrev_b32_e32 v2, 3, v71
	v_add_co_u32 v0, vcc_lo, 0x800, v0
	v_add_co_ci_u32_e32 v1, vcc_lo, 0, v1, vcc_lo
	v_mad_u64_u32 v[8:9], null, s4, v74, 0
	s_clause 0x1
	global_load_dwordx2 v[47:48], v[0:1], off offset:64
	global_load_dwordx2 v[49:50], v2, s[14:15]
	v_mad_u64_u32 v[0:1], null, s6, v44, 0
	v_mad_u64_u32 v[53:54], null, s4, v73, 0
	v_mov_b32_e32 v2, v9
	v_mad_u64_u32 v[55:56], null, s4, v72, 0
	v_lshl_add_u32 v16, v75, 3, v79
	ds_read_b64 v[51:52], v81
	v_mad_u64_u32 v[3:4], null, s7, v44, v[1:2]
	v_mad_u64_u32 v[57:58], null, s4, v71, 0
	v_add_nc_u32_e32 v20, 0x800, v16
	s_mul_i32 s2, s5, 0xc0
	s_mul_hi_u32 s3, s4, 0xc0
	s_mul_i32 s6, s4, 0xc0
	v_mad_u64_u32 v[4:5], null, s5, v74, v[2:3]
	v_mov_b32_e32 v1, v3
	v_mov_b32_e32 v44, v58
	s_add_i32 s3, s3, s2
	s_mov_b32 s0, 0x1a41a41a
	s_mov_b32 s1, 0x3f6a41a4
	v_lshlrev_b64 v[10:11], 3, v[0:1]
	v_mov_b32_e32 v9, v4
	ds_read2_b64 v[0:3], v16 offset0:24 offset1:48
	ds_read2_b64 v[4:7], v16 offset0:72 offset1:96
	s_mul_i32 s7, s5, 0x180
	v_lshlrev_b64 v[12:13], 3, v[8:9]
	v_add_co_u32 v77, vcc_lo, s12, v10
	v_add_co_ci_u32_e32 v78, vcc_lo, s13, v11, vcc_lo
	ds_read2_b64 v[8:11], v16 offset0:120 offset1:144
	v_add_co_u32 v59, vcc_lo, v77, v12
	v_add_co_ci_u32_e32 v60, vcc_lo, v78, v13, vcc_lo
	v_mov_b32_e32 v12, v54
	v_mov_b32_e32 v13, v56
	v_add_co_u32 v61, vcc_lo, v59, s6
	v_add_co_ci_u32_e32 v62, vcc_lo, s3, v60, vcc_lo
	v_mad_u64_u32 v[67:68], null, s5, v73, v[12:13]
	v_mad_u64_u32 v[72:73], null, s5, v72, v[13:14]
	ds_read2_b64 v[12:15], v16 offset0:168 offset1:192
	ds_read2_b64 v[16:19], v16 offset0:216 offset1:240
	;; [unrolled: 1-line block ×3, first 2 shown]
	v_add_co_u32 v63, vcc_lo, v61, s6
	v_add_co_ci_u32_e32 v64, vcc_lo, s3, v62, vcc_lo
	v_mov_b32_e32 v54, v67
	v_add_co_u32 v65, vcc_lo, v63, s6
	v_add_co_ci_u32_e32 v66, vcc_lo, s3, v64, vcc_lo
	v_mov_b32_e32 v56, v72
	v_lshlrev_b64 v[53:54], 3, v[53:54]
	v_mad_u64_u32 v[68:69], null, 0x180, s4, v[65:66]
	v_lshlrev_b64 v[55:56], 3, v[55:56]
	v_add_nc_u32_e32 v69, s7, v69
	s_waitcnt vmcnt(11) lgkmcnt(5)
	v_mul_f32_e32 v67, v1, v27
	v_mul_f32_e32 v27, v0, v27
	s_waitcnt vmcnt(9) lgkmcnt(4)
	v_mul_f32_e32 v79, v5, v31
	v_mul_f32_e32 v31, v4, v31
	s_waitcnt vmcnt(8)
	v_mul_f32_e32 v80, v7, v33
	v_mul_f32_e32 v33, v6, v33
	s_waitcnt vmcnt(7) lgkmcnt(3)
	v_mul_f32_e32 v81, v9, v35
	v_mul_f32_e32 v35, v8, v35
	s_waitcnt vmcnt(6)
	v_mul_f32_e32 v82, v11, v37
	s_waitcnt vmcnt(2)
	v_mad_u64_u32 v[70:71], null, s5, v71, v[44:45]
	v_mul_f32_e32 v44, v52, v25
	v_mul_f32_e32 v25, v51, v25
	;; [unrolled: 1-line block ×3, first 2 shown]
	v_fmac_f32_e32 v67, v0, v26
	s_waitcnt lgkmcnt(2)
	v_mul_f32_e32 v83, v13, v39
	v_fmac_f32_e32 v44, v51, v24
	v_mov_b32_e32 v58, v70
	v_mul_f32_e32 v70, v3, v29
	v_mul_f32_e32 v29, v2, v29
	v_fma_f32 v24, v24, v52, -v25
	v_fma_f32 v25, v26, v1, -v27
	v_mul_f32_e32 v39, v12, v39
	v_fmac_f32_e32 v70, v2, v28
	v_fma_f32 v26, v28, v3, -v29
	v_mul_f32_e32 v84, v15, v41
	v_mul_f32_e32 v41, v14, v41
	v_fmac_f32_e32 v79, v4, v30
	v_fma_f32 v27, v30, v5, -v31
	s_waitcnt lgkmcnt(1)
	v_mul_f32_e32 v85, v17, v43
	v_mul_f32_e32 v43, v16, v43
	v_mul_f32_e32 v86, v19, v46
	v_mul_f32_e32 v46, v18, v46
	v_fmac_f32_e32 v80, v6, v32
	v_fma_f32 v28, v32, v7, -v33
	v_fmac_f32_e32 v81, v8, v34
	v_fma_f32 v29, v34, v9, -v35
	v_cvt_f64_f32_e32 v[0:1], v44
	v_cvt_f64_f32_e32 v[2:3], v24
	v_fmac_f32_e32 v82, v10, v36
	v_fma_f32 v30, v36, v11, -v37
	v_cvt_f64_f32_e32 v[4:5], v67
	v_cvt_f64_f32_e32 v[6:7], v25
	s_waitcnt vmcnt(1) lgkmcnt(0)
	v_mul_f32_e32 v51, v21, v48
	v_mul_f32_e32 v48, v20, v48
	v_fmac_f32_e32 v83, v12, v38
	v_fma_f32 v34, v38, v13, -v39
	v_cvt_f64_f32_e32 v[8:9], v70
	v_cvt_f64_f32_e32 v[10:11], v26
	s_waitcnt vmcnt(0)
	v_mul_f32_e32 v52, v23, v50
	v_mul_f32_e32 v50, v22, v50
	v_fmac_f32_e32 v84, v14, v40
	v_fma_f32 v38, v40, v15, -v41
	v_cvt_f64_f32_e32 v[12:13], v79
	v_cvt_f64_f32_e32 v[14:15], v27
	v_fmac_f32_e32 v85, v16, v42
	v_fma_f32 v42, v42, v17, -v43
	v_fmac_f32_e32 v86, v18, v45
	v_fma_f32 v46, v45, v19, -v46
	v_cvt_f64_f32_e32 v[16:17], v80
	v_cvt_f64_f32_e32 v[18:19], v28
	;; [unrolled: 1-line block ×6, first 2 shown]
	v_fmac_f32_e32 v51, v20, v47
	v_fma_f32 v47, v47, v21, -v48
	v_cvt_f64_f32_e32 v[32:33], v83
	v_cvt_f64_f32_e32 v[34:35], v34
	v_fmac_f32_e32 v52, v22, v49
	v_fma_f32 v50, v49, v23, -v50
	v_cvt_f64_f32_e32 v[36:37], v84
	v_cvt_f64_f32_e32 v[38:39], v38
	;; [unrolled: 1-line block ×10, first 2 shown]
	v_mul_f64 v[0:1], v[0:1], s[0:1]
	v_mul_f64 v[2:3], v[2:3], s[0:1]
	;; [unrolled: 1-line block ×26, first 2 shown]
	v_add_co_u32 v71, vcc_lo, v68, s6
	v_add_co_ci_u32_e32 v72, vcc_lo, s3, v69, vcc_lo
	v_cvt_f32_f64_e32 v0, v[0:1]
	v_add_co_u32 v73, vcc_lo, v71, s6
	v_add_co_ci_u32_e32 v74, vcc_lo, s3, v72, vcc_lo
	v_cvt_f32_f64_e32 v1, v[2:3]
	v_cvt_f32_f64_e32 v2, v[4:5]
	;; [unrolled: 1-line block ×5, first 2 shown]
	v_mad_u64_u32 v[75:76], null, 0x180, s4, v[73:74]
	v_cvt_f32_f64_e32 v6, v[12:13]
	v_cvt_f32_f64_e32 v7, v[14:15]
	;; [unrolled: 1-line block ×10, first 2 shown]
	v_add_co_u32 v53, vcc_lo, v77, v53
	v_cvt_f32_f64_e32 v16, v[36:37]
	v_cvt_f32_f64_e32 v17, v[38:39]
	;; [unrolled: 1-line block ×4, first 2 shown]
	v_add_co_ci_u32_e32 v54, vcc_lo, v78, v54, vcc_lo
	v_cvt_f32_f64_e32 v24, v[44:45]
	v_cvt_f32_f64_e32 v25, v[20:21]
	v_lshlrev_b64 v[57:58], 3, v[57:58]
	v_add_co_u32 v55, vcc_lo, v77, v55
	v_add_nc_u32_e32 v76, s7, v76
	v_cvt_f32_f64_e32 v20, v[22:23]
	v_cvt_f32_f64_e32 v21, v[46:47]
	;; [unrolled: 1-line block ×4, first 2 shown]
	v_add_co_ci_u32_e32 v56, vcc_lo, v78, v56, vcc_lo
	v_add_co_u32 v26, vcc_lo, v75, s6
	v_add_co_ci_u32_e32 v27, vcc_lo, s3, v76, vcc_lo
	v_add_co_u32 v28, vcc_lo, v77, v57
	;; [unrolled: 2-line block ×3, first 2 shown]
	v_add_co_ci_u32_e32 v31, vcc_lo, s3, v27, vcc_lo
	global_store_dwordx2 v[59:60], v[0:1], off
	global_store_dwordx2 v[61:62], v[2:3], off
	;; [unrolled: 1-line block ×13, first 2 shown]
.LBB0_15:
	s_endpgm
	.section	.rodata,"a",@progbits
	.p2align	6, 0x0
	.amdhsa_kernel bluestein_single_fwd_len312_dim1_sp_op_CI_CI
		.amdhsa_group_segment_fixed_size 4992
		.amdhsa_private_segment_fixed_size 0
		.amdhsa_kernarg_size 104
		.amdhsa_user_sgpr_count 6
		.amdhsa_user_sgpr_private_segment_buffer 1
		.amdhsa_user_sgpr_dispatch_ptr 0
		.amdhsa_user_sgpr_queue_ptr 0
		.amdhsa_user_sgpr_kernarg_segment_ptr 1
		.amdhsa_user_sgpr_dispatch_id 0
		.amdhsa_user_sgpr_flat_scratch_init 0
		.amdhsa_user_sgpr_private_segment_size 0
		.amdhsa_wavefront_size32 1
		.amdhsa_uses_dynamic_stack 0
		.amdhsa_system_sgpr_private_segment_wavefront_offset 0
		.amdhsa_system_sgpr_workgroup_id_x 1
		.amdhsa_system_sgpr_workgroup_id_y 0
		.amdhsa_system_sgpr_workgroup_id_z 0
		.amdhsa_system_sgpr_workgroup_info 0
		.amdhsa_system_vgpr_workitem_id 0
		.amdhsa_next_free_vgpr 162
		.amdhsa_next_free_sgpr 16
		.amdhsa_reserve_vcc 1
		.amdhsa_reserve_flat_scratch 0
		.amdhsa_float_round_mode_32 0
		.amdhsa_float_round_mode_16_64 0
		.amdhsa_float_denorm_mode_32 3
		.amdhsa_float_denorm_mode_16_64 3
		.amdhsa_dx10_clamp 1
		.amdhsa_ieee_mode 1
		.amdhsa_fp16_overflow 0
		.amdhsa_workgroup_processor_mode 1
		.amdhsa_memory_ordered 1
		.amdhsa_forward_progress 0
		.amdhsa_shared_vgpr_count 0
		.amdhsa_exception_fp_ieee_invalid_op 0
		.amdhsa_exception_fp_denorm_src 0
		.amdhsa_exception_fp_ieee_div_zero 0
		.amdhsa_exception_fp_ieee_overflow 0
		.amdhsa_exception_fp_ieee_underflow 0
		.amdhsa_exception_fp_ieee_inexact 0
		.amdhsa_exception_int_div_zero 0
	.end_amdhsa_kernel
	.text
.Lfunc_end0:
	.size	bluestein_single_fwd_len312_dim1_sp_op_CI_CI, .Lfunc_end0-bluestein_single_fwd_len312_dim1_sp_op_CI_CI
                                        ; -- End function
	.section	.AMDGPU.csdata,"",@progbits
; Kernel info:
; codeLenInByte = 12932
; NumSgprs: 18
; NumVgprs: 162
; ScratchSize: 0
; MemoryBound: 0
; FloatMode: 240
; IeeeMode: 1
; LDSByteSize: 4992 bytes/workgroup (compile time only)
; SGPRBlocks: 2
; VGPRBlocks: 20
; NumSGPRsForWavesPerEU: 18
; NumVGPRsForWavesPerEU: 162
; Occupancy: 5
; WaveLimiterHint : 1
; COMPUTE_PGM_RSRC2:SCRATCH_EN: 0
; COMPUTE_PGM_RSRC2:USER_SGPR: 6
; COMPUTE_PGM_RSRC2:TRAP_HANDLER: 0
; COMPUTE_PGM_RSRC2:TGID_X_EN: 1
; COMPUTE_PGM_RSRC2:TGID_Y_EN: 0
; COMPUTE_PGM_RSRC2:TGID_Z_EN: 0
; COMPUTE_PGM_RSRC2:TIDIG_COMP_CNT: 0
	.text
	.p2alignl 6, 3214868480
	.fill 48, 4, 3214868480
	.type	__hip_cuid_69825392cde8e612,@object ; @__hip_cuid_69825392cde8e612
	.section	.bss,"aw",@nobits
	.globl	__hip_cuid_69825392cde8e612
__hip_cuid_69825392cde8e612:
	.byte	0                               ; 0x0
	.size	__hip_cuid_69825392cde8e612, 1

	.ident	"AMD clang version 19.0.0git (https://github.com/RadeonOpenCompute/llvm-project roc-6.4.0 25133 c7fe45cf4b819c5991fe208aaa96edf142730f1d)"
	.section	".note.GNU-stack","",@progbits
	.addrsig
	.addrsig_sym __hip_cuid_69825392cde8e612
	.amdgpu_metadata
---
amdhsa.kernels:
  - .args:
      - .actual_access:  read_only
        .address_space:  global
        .offset:         0
        .size:           8
        .value_kind:     global_buffer
      - .actual_access:  read_only
        .address_space:  global
        .offset:         8
        .size:           8
        .value_kind:     global_buffer
      - .actual_access:  read_only
        .address_space:  global
        .offset:         16
        .size:           8
        .value_kind:     global_buffer
      - .actual_access:  read_only
        .address_space:  global
        .offset:         24
        .size:           8
        .value_kind:     global_buffer
      - .actual_access:  read_only
        .address_space:  global
        .offset:         32
        .size:           8
        .value_kind:     global_buffer
      - .offset:         40
        .size:           8
        .value_kind:     by_value
      - .address_space:  global
        .offset:         48
        .size:           8
        .value_kind:     global_buffer
      - .address_space:  global
        .offset:         56
        .size:           8
        .value_kind:     global_buffer
      - .address_space:  global
        .offset:         64
        .size:           8
        .value_kind:     global_buffer
      - .address_space:  global
        .offset:         72
        .size:           8
        .value_kind:     global_buffer
      - .offset:         80
        .size:           4
        .value_kind:     by_value
      - .address_space:  global
        .offset:         88
        .size:           8
        .value_kind:     global_buffer
      - .address_space:  global
        .offset:         96
        .size:           8
        .value_kind:     global_buffer
    .group_segment_fixed_size: 4992
    .kernarg_segment_align: 8
    .kernarg_segment_size: 104
    .language:       OpenCL C
    .language_version:
      - 2
      - 0
    .max_flat_workgroup_size: 52
    .name:           bluestein_single_fwd_len312_dim1_sp_op_CI_CI
    .private_segment_fixed_size: 0
    .sgpr_count:     18
    .sgpr_spill_count: 0
    .symbol:         bluestein_single_fwd_len312_dim1_sp_op_CI_CI.kd
    .uniform_work_group_size: 1
    .uses_dynamic_stack: false
    .vgpr_count:     162
    .vgpr_spill_count: 0
    .wavefront_size: 32
    .workgroup_processor_mode: 1
amdhsa.target:   amdgcn-amd-amdhsa--gfx1030
amdhsa.version:
  - 1
  - 2
...

	.end_amdgpu_metadata
